;; amdgpu-corpus repo=ROCm/rocFFT kind=compiled arch=gfx1030 opt=O3
	.text
	.amdgcn_target "amdgcn-amd-amdhsa--gfx1030"
	.amdhsa_code_object_version 6
	.protected	fft_rtc_back_len3456_factors_6_6_6_4_4_wgs_144_tpt_144_halfLds_half_ip_CI_unitstride_sbrr_C2R_dirReg ; -- Begin function fft_rtc_back_len3456_factors_6_6_6_4_4_wgs_144_tpt_144_halfLds_half_ip_CI_unitstride_sbrr_C2R_dirReg
	.globl	fft_rtc_back_len3456_factors_6_6_6_4_4_wgs_144_tpt_144_halfLds_half_ip_CI_unitstride_sbrr_C2R_dirReg
	.p2align	8
	.type	fft_rtc_back_len3456_factors_6_6_6_4_4_wgs_144_tpt_144_halfLds_half_ip_CI_unitstride_sbrr_C2R_dirReg,@function
fft_rtc_back_len3456_factors_6_6_6_4_4_wgs_144_tpt_144_halfLds_half_ip_CI_unitstride_sbrr_C2R_dirReg: ; @fft_rtc_back_len3456_factors_6_6_6_4_4_wgs_144_tpt_144_halfLds_half_ip_CI_unitstride_sbrr_C2R_dirReg
; %bb.0:
	s_clause 0x2
	s_load_dwordx4 s[8:11], s[4:5], 0x0
	s_load_dwordx2 s[2:3], s[4:5], 0x50
	s_load_dwordx2 s[12:13], s[4:5], 0x18
	v_mul_u32_u24_e32 v1, 0x1c8, v0
	v_mov_b32_e32 v3, 0
	v_add_nc_u32_sdwa v5, s6, v1 dst_sel:DWORD dst_unused:UNUSED_PAD src0_sel:DWORD src1_sel:WORD_1
	v_mov_b32_e32 v1, 0
	v_mov_b32_e32 v6, v3
	v_mov_b32_e32 v2, 0
	s_waitcnt lgkmcnt(0)
	v_cmp_lt_u64_e64 s0, s[10:11], 2
	s_and_b32 vcc_lo, exec_lo, s0
	s_cbranch_vccnz .LBB0_8
; %bb.1:
	s_load_dwordx2 s[0:1], s[4:5], 0x10
	v_mov_b32_e32 v1, 0
	s_add_u32 s6, s12, 8
	v_mov_b32_e32 v2, 0
	s_addc_u32 s7, s13, 0
	s_mov_b64 s[16:17], 1
	s_waitcnt lgkmcnt(0)
	s_add_u32 s14, s0, 8
	s_addc_u32 s15, s1, 0
.LBB0_2:                                ; =>This Inner Loop Header: Depth=1
	s_load_dwordx2 s[18:19], s[14:15], 0x0
                                        ; implicit-def: $vgpr7_vgpr8
	s_mov_b32 s0, exec_lo
	s_waitcnt lgkmcnt(0)
	v_or_b32_e32 v4, s19, v6
	v_cmpx_ne_u64_e32 0, v[3:4]
	s_xor_b32 s1, exec_lo, s0
	s_cbranch_execz .LBB0_4
; %bb.3:                                ;   in Loop: Header=BB0_2 Depth=1
	v_cvt_f32_u32_e32 v4, s18
	v_cvt_f32_u32_e32 v7, s19
	s_sub_u32 s0, 0, s18
	s_subb_u32 s20, 0, s19
	v_fmac_f32_e32 v4, 0x4f800000, v7
	v_rcp_f32_e32 v4, v4
	v_mul_f32_e32 v4, 0x5f7ffffc, v4
	v_mul_f32_e32 v7, 0x2f800000, v4
	v_trunc_f32_e32 v7, v7
	v_fmac_f32_e32 v4, 0xcf800000, v7
	v_cvt_u32_f32_e32 v7, v7
	v_cvt_u32_f32_e32 v4, v4
	v_mul_lo_u32 v8, s0, v7
	v_mul_hi_u32 v9, s0, v4
	v_mul_lo_u32 v10, s20, v4
	v_add_nc_u32_e32 v8, v9, v8
	v_mul_lo_u32 v9, s0, v4
	v_add_nc_u32_e32 v8, v8, v10
	v_mul_hi_u32 v10, v4, v9
	v_mul_lo_u32 v11, v4, v8
	v_mul_hi_u32 v12, v4, v8
	v_mul_hi_u32 v13, v7, v9
	v_mul_lo_u32 v9, v7, v9
	v_mul_hi_u32 v14, v7, v8
	v_mul_lo_u32 v8, v7, v8
	v_add_co_u32 v10, vcc_lo, v10, v11
	v_add_co_ci_u32_e32 v11, vcc_lo, 0, v12, vcc_lo
	v_add_co_u32 v9, vcc_lo, v10, v9
	v_add_co_ci_u32_e32 v9, vcc_lo, v11, v13, vcc_lo
	v_add_co_ci_u32_e32 v10, vcc_lo, 0, v14, vcc_lo
	v_add_co_u32 v8, vcc_lo, v9, v8
	v_add_co_ci_u32_e32 v9, vcc_lo, 0, v10, vcc_lo
	v_add_co_u32 v4, vcc_lo, v4, v8
	v_add_co_ci_u32_e32 v7, vcc_lo, v7, v9, vcc_lo
	v_mul_hi_u32 v8, s0, v4
	v_mul_lo_u32 v10, s20, v4
	v_mul_lo_u32 v9, s0, v7
	v_add_nc_u32_e32 v8, v8, v9
	v_mul_lo_u32 v9, s0, v4
	v_add_nc_u32_e32 v8, v8, v10
	v_mul_hi_u32 v10, v4, v9
	v_mul_lo_u32 v11, v4, v8
	v_mul_hi_u32 v12, v4, v8
	v_mul_hi_u32 v13, v7, v9
	v_mul_lo_u32 v9, v7, v9
	v_mul_hi_u32 v14, v7, v8
	v_mul_lo_u32 v8, v7, v8
	v_add_co_u32 v10, vcc_lo, v10, v11
	v_add_co_ci_u32_e32 v11, vcc_lo, 0, v12, vcc_lo
	v_add_co_u32 v9, vcc_lo, v10, v9
	v_add_co_ci_u32_e32 v9, vcc_lo, v11, v13, vcc_lo
	v_add_co_ci_u32_e32 v10, vcc_lo, 0, v14, vcc_lo
	v_add_co_u32 v8, vcc_lo, v9, v8
	v_add_co_ci_u32_e32 v9, vcc_lo, 0, v10, vcc_lo
	v_add_co_u32 v4, vcc_lo, v4, v8
	v_add_co_ci_u32_e32 v11, vcc_lo, v7, v9, vcc_lo
	v_mul_hi_u32 v13, v5, v4
	v_mad_u64_u32 v[9:10], null, v6, v4, 0
	v_mad_u64_u32 v[7:8], null, v5, v11, 0
	;; [unrolled: 1-line block ×3, first 2 shown]
	v_add_co_u32 v4, vcc_lo, v13, v7
	v_add_co_ci_u32_e32 v7, vcc_lo, 0, v8, vcc_lo
	v_add_co_u32 v4, vcc_lo, v4, v9
	v_add_co_ci_u32_e32 v4, vcc_lo, v7, v10, vcc_lo
	v_add_co_ci_u32_e32 v7, vcc_lo, 0, v12, vcc_lo
	v_add_co_u32 v4, vcc_lo, v4, v11
	v_add_co_ci_u32_e32 v9, vcc_lo, 0, v7, vcc_lo
	v_mul_lo_u32 v10, s19, v4
	v_mad_u64_u32 v[7:8], null, s18, v4, 0
	v_mul_lo_u32 v11, s18, v9
	v_sub_co_u32 v7, vcc_lo, v5, v7
	v_add3_u32 v8, v8, v11, v10
	v_sub_nc_u32_e32 v10, v6, v8
	v_subrev_co_ci_u32_e64 v10, s0, s19, v10, vcc_lo
	v_add_co_u32 v11, s0, v4, 2
	v_add_co_ci_u32_e64 v12, s0, 0, v9, s0
	v_sub_co_u32 v13, s0, v7, s18
	v_sub_co_ci_u32_e32 v8, vcc_lo, v6, v8, vcc_lo
	v_subrev_co_ci_u32_e64 v10, s0, 0, v10, s0
	v_cmp_le_u32_e32 vcc_lo, s18, v13
	v_cmp_eq_u32_e64 s0, s19, v8
	v_cndmask_b32_e64 v13, 0, -1, vcc_lo
	v_cmp_le_u32_e32 vcc_lo, s19, v10
	v_cndmask_b32_e64 v14, 0, -1, vcc_lo
	v_cmp_le_u32_e32 vcc_lo, s18, v7
	;; [unrolled: 2-line block ×3, first 2 shown]
	v_cndmask_b32_e64 v15, 0, -1, vcc_lo
	v_cmp_eq_u32_e32 vcc_lo, s19, v10
	v_cndmask_b32_e64 v7, v15, v7, s0
	v_cndmask_b32_e32 v10, v14, v13, vcc_lo
	v_add_co_u32 v13, vcc_lo, v4, 1
	v_add_co_ci_u32_e32 v14, vcc_lo, 0, v9, vcc_lo
	v_cmp_ne_u32_e32 vcc_lo, 0, v10
	v_cndmask_b32_e32 v8, v14, v12, vcc_lo
	v_cndmask_b32_e32 v10, v13, v11, vcc_lo
	v_cmp_ne_u32_e32 vcc_lo, 0, v7
	v_cndmask_b32_e32 v8, v9, v8, vcc_lo
	v_cndmask_b32_e32 v7, v4, v10, vcc_lo
.LBB0_4:                                ;   in Loop: Header=BB0_2 Depth=1
	s_andn2_saveexec_b32 s0, s1
	s_cbranch_execz .LBB0_6
; %bb.5:                                ;   in Loop: Header=BB0_2 Depth=1
	v_cvt_f32_u32_e32 v4, s18
	s_sub_i32 s1, 0, s18
	v_rcp_iflag_f32_e32 v4, v4
	v_mul_f32_e32 v4, 0x4f7ffffe, v4
	v_cvt_u32_f32_e32 v4, v4
	v_mul_lo_u32 v7, s1, v4
	v_mul_hi_u32 v7, v4, v7
	v_add_nc_u32_e32 v4, v4, v7
	v_mul_hi_u32 v4, v5, v4
	v_mul_lo_u32 v7, v4, s18
	v_add_nc_u32_e32 v8, 1, v4
	v_sub_nc_u32_e32 v7, v5, v7
	v_subrev_nc_u32_e32 v9, s18, v7
	v_cmp_le_u32_e32 vcc_lo, s18, v7
	v_cndmask_b32_e32 v7, v7, v9, vcc_lo
	v_cndmask_b32_e32 v4, v4, v8, vcc_lo
	v_cmp_le_u32_e32 vcc_lo, s18, v7
	v_add_nc_u32_e32 v8, 1, v4
	v_cndmask_b32_e32 v7, v4, v8, vcc_lo
	v_mov_b32_e32 v8, v3
.LBB0_6:                                ;   in Loop: Header=BB0_2 Depth=1
	s_or_b32 exec_lo, exec_lo, s0
	s_load_dwordx2 s[0:1], s[6:7], 0x0
	v_mul_lo_u32 v4, v8, s18
	v_mul_lo_u32 v11, v7, s19
	v_mad_u64_u32 v[9:10], null, v7, s18, 0
	s_add_u32 s16, s16, 1
	s_addc_u32 s17, s17, 0
	s_add_u32 s6, s6, 8
	s_addc_u32 s7, s7, 0
	;; [unrolled: 2-line block ×3, first 2 shown]
	v_add3_u32 v4, v10, v11, v4
	v_sub_co_u32 v5, vcc_lo, v5, v9
	v_sub_co_ci_u32_e32 v4, vcc_lo, v6, v4, vcc_lo
	s_waitcnt lgkmcnt(0)
	v_mul_lo_u32 v6, s1, v5
	v_mul_lo_u32 v4, s0, v4
	v_mad_u64_u32 v[1:2], null, s0, v5, v[1:2]
	v_cmp_ge_u64_e64 s0, s[16:17], s[10:11]
	s_and_b32 vcc_lo, exec_lo, s0
	v_add3_u32 v2, v6, v2, v4
	s_cbranch_vccnz .LBB0_9
; %bb.7:                                ;   in Loop: Header=BB0_2 Depth=1
	v_mov_b32_e32 v5, v7
	v_mov_b32_e32 v6, v8
	s_branch .LBB0_2
.LBB0_8:
	v_mov_b32_e32 v8, v6
	v_mov_b32_e32 v7, v5
.LBB0_9:
	s_lshl_b64 s[0:1], s[10:11], 3
	v_mul_hi_u32 v5, 0x1c71c72, v0
	s_add_u32 s0, s12, s0
	s_addc_u32 s1, s13, s1
	s_load_dwordx2 s[0:1], s[0:1], 0x0
	s_load_dwordx2 s[4:5], s[4:5], 0x20
	s_waitcnt lgkmcnt(0)
	v_mul_lo_u32 v3, s0, v8
	v_mul_lo_u32 v4, s1, v7
	v_mad_u64_u32 v[1:2], null, s0, v7, v[1:2]
	v_cmp_gt_u64_e32 vcc_lo, s[4:5], v[7:8]
	v_add3_u32 v2, v4, v2, v3
	v_mul_u32_u24_e32 v3, 0x90, v5
	v_lshlrev_b64 v[20:21], 2, v[1:2]
	v_sub_nc_u32_e32 v18, v0, v3
	s_and_saveexec_b32 s1, vcc_lo
	s_cbranch_execz .LBB0_13
; %bb.10:
	v_mov_b32_e32 v19, 0
	v_add_co_u32 v0, s0, s2, v20
	v_add_co_ci_u32_e64 v1, s0, s3, v21, s0
	v_lshlrev_b64 v[2:3], 2, v[18:19]
	v_or_b32_e32 v8, 0x900, v18
	v_mov_b32_e32 v9, v19
	v_add_co_u32 v2, s0, v0, v2
	v_add_co_ci_u32_e64 v3, s0, v1, v3, s0
	v_lshlrev_b64 v[8:9], 2, v[8:9]
	v_add_co_u32 v4, s0, 0x800, v2
	v_add_co_ci_u32_e64 v5, s0, 0, v3, s0
	s_clause 0x7
	global_load_dword v12, v[2:3], off
	global_load_dword v13, v[2:3], off offset:576
	global_load_dword v14, v[2:3], off offset:1152
	;; [unrolled: 1-line block ×7, first 2 shown]
	v_add_co_u32 v4, s0, 0x1000, v2
	v_add_co_ci_u32_e64 v5, s0, 0, v3, s0
	v_add_co_u32 v6, s0, 0x1800, v2
	v_add_co_ci_u32_e64 v7, s0, 0, v3, s0
	;; [unrolled: 2-line block ×3, first 2 shown]
	s_clause 0x7
	global_load_dword v24, v[4:5], off offset:512
	global_load_dword v25, v[4:5], off offset:1088
	;; [unrolled: 1-line block ×8, first 2 shown]
	v_add_co_u32 v4, s0, v0, v8
	v_add_co_ci_u32_e64 v5, s0, v1, v9, s0
	v_add_co_u32 v6, s0, 0x2800, v2
	v_add_co_ci_u32_e64 v7, s0, 0, v3, s0
	;; [unrolled: 2-line block ×3, first 2 shown]
	s_clause 0x7
	global_load_dword v8, v[6:7], off offset:128
	global_load_dword v9, v[6:7], off offset:704
	;; [unrolled: 1-line block ×6, first 2 shown]
	global_load_dword v3, v[4:5], off
	global_load_dword v4, v[10:11], off offset:1600
	v_lshl_add_u32 v5, v18, 2, 0
	v_cmp_eq_u32_e64 s0, 0x8f, v18
	v_add_nc_u32_e32 v10, 0x400, v5
	v_add_nc_u32_e32 v11, 0x800, v5
	;; [unrolled: 1-line block ×11, first 2 shown]
	s_waitcnt vmcnt(22)
	ds_write2_b32 v5, v12, v13 offset1:144
	s_waitcnt vmcnt(20)
	ds_write2_b32 v10, v14, v15 offset0:32 offset1:176
	s_waitcnt vmcnt(18)
	ds_write2_b32 v11, v16, v17 offset0:64 offset1:208
	;; [unrolled: 2-line block ×3, first 2 shown]
	s_waitcnt vmcnt(14)
	ds_write2_b32 v34, v24, v25 offset1:144
	s_waitcnt vmcnt(12)
	ds_write2_b32 v35, v26, v27 offset0:32 offset1:176
	s_waitcnt vmcnt(10)
	ds_write2_b32 v36, v28, v29 offset0:64 offset1:208
	;; [unrolled: 2-line block ×3, first 2 shown]
	s_waitcnt vmcnt(0)
	ds_write2_b32 v38, v3, v4 offset1:144
	ds_write2_b32 v39, v8, v9 offset0:32 offset1:176
	ds_write2_b32 v40, v32, v6 offset0:64 offset1:208
	;; [unrolled: 1-line block ×3, first 2 shown]
	s_and_saveexec_b32 s4, s0
	s_cbranch_execz .LBB0_12
; %bb.11:
	v_add_co_u32 v0, s0, 0x3000, v0
	v_add_co_ci_u32_e64 v1, s0, 0, v1, s0
	v_mov_b32_e32 v18, 0x8f
	global_load_dword v0, v[0:1], off offset:1536
	s_waitcnt vmcnt(0)
	ds_write_b32 v19, v0 offset:13824
.LBB0_12:
	s_or_b32 exec_lo, exec_lo, s4
.LBB0_13:
	s_or_b32 exec_lo, exec_lo, s1
	v_lshlrev_b32_e32 v0, 2, v18
	s_waitcnt lgkmcnt(0)
	s_barrier
	buffer_gl0_inv
	s_add_u32 s1, s8, 0x35e8
	v_add_nc_u32_e32 v24, 0, v0
	v_sub_nc_u32_e32 v2, 0, v0
	s_addc_u32 s4, s9, 0
	s_mov_b32 s5, exec_lo
                                        ; implicit-def: $vgpr0_vgpr1
	ds_read_u16 v5, v24
	ds_read_u16 v6, v2 offset:13824
	s_waitcnt lgkmcnt(0)
	v_add_f16_e32 v4, v6, v5
	v_sub_f16_e32 v3, v5, v6
	v_cmpx_ne_u32_e32 0, v18
	s_xor_b32 s5, exec_lo, s5
	s_cbranch_execz .LBB0_15
; %bb.14:
	v_mov_b32_e32 v19, 0
	v_add_f16_e32 v4, v6, v5
	v_sub_f16_e32 v5, v5, v6
	v_lshlrev_b64 v[0:1], 2, v[18:19]
	v_add_co_u32 v0, s0, s1, v0
	v_add_co_ci_u32_e64 v1, s0, s4, v1, s0
	global_load_dword v0, v[0:1], off
	ds_read_u16 v1, v2 offset:13826
	ds_read_u16 v3, v24 offset:2
	s_waitcnt lgkmcnt(0)
	v_add_f16_e32 v6, v1, v3
	v_sub_f16_e32 v1, v3, v1
	s_waitcnt vmcnt(0)
	v_lshrrev_b32_e32 v7, 16, v0
	v_fma_f16 v8, -v5, v7, v4
	v_fma_f16 v9, v6, v7, -v1
	v_fma_f16 v3, v6, v7, v1
	v_fma_f16 v4, v5, v7, v4
	v_fmac_f16_e32 v8, v0, v6
	v_fmac_f16_e32 v9, v5, v0
	;; [unrolled: 1-line block ×3, first 2 shown]
	v_fma_f16 v4, -v0, v6, v4
	v_mov_b32_e32 v0, v18
	v_mov_b32_e32 v1, v19
	v_pack_b32_f16 v5, v8, v9
	ds_write_b32 v2, v5 offset:13824
.LBB0_15:
	s_andn2_saveexec_b32 s0, s5
	s_cbranch_execz .LBB0_17
; %bb.16:
	v_mov_b32_e32 v5, 0
	ds_read_b32 v0, v5 offset:6912
	s_waitcnt lgkmcnt(0)
	v_pk_mul_f16 v6, 0xc0004000, v0
	v_mov_b32_e32 v0, 0
	v_mov_b32_e32 v1, 0
	ds_write_b32 v5, v6 offset:6912
.LBB0_17:
	s_or_b32 exec_lo, exec_lo, s0
	v_lshlrev_b64 v[0:1], 2, v[0:1]
	v_perm_b32 v3, v3, v4, 0x5040100
	v_and_b32_e32 v23, 0xff, v18
	v_add_nc_u32_e32 v35, 0x90, v18
	v_add_nc_u32_e32 v28, 0x2c00, v24
	;; [unrolled: 1-line block ×3, first 2 shown]
	v_add_co_u32 v0, s0, s1, v0
	v_add_co_ci_u32_e64 v1, s0, s4, v1, s0
	v_add_nc_u32_e32 v29, 0x400, v24
	v_add_co_u32 v5, s0, 0x800, v0
	s_clause 0x2
	global_load_dword v7, v[0:1], off offset:576
	global_load_dword v8, v[0:1], off offset:1152
	;; [unrolled: 1-line block ×3, first 2 shown]
	v_add_co_ci_u32_e64 v6, s0, 0, v1, s0
	v_add_nc_u32_e32 v34, 0x3000, v24
	v_add_nc_u32_e32 v27, 0x1a00, v24
	s_clause 0x3
	global_load_dword v10, v[5:6], off offset:256
	global_load_dword v11, v[5:6], off offset:832
	;; [unrolled: 1-line block ×4, first 2 shown]
	ds_write_b32 v24, v3
	ds_read_b32 v6, v24 offset:576
	ds_read_b32 v13, v2 offset:13248
	v_add_co_u32 v3, s0, 0x1000, v0
	v_add_co_ci_u32_e64 v4, s0, 0, v1, s0
	v_add_co_u32 v0, s0, 0x1800, v0
	v_add_co_ci_u32_e64 v1, s0, 0, v1, s0
	global_load_dword v14, v[3:4], off offset:512
	v_add_nc_u32_e32 v31, 0xc00, v24
	v_add_nc_u32_e32 v25, 0x2400, v24
	;; [unrolled: 1-line block ×5, first 2 shown]
	v_cmp_gt_u32_e64 s0, 0x48, v18
	s_waitcnt lgkmcnt(0)
	v_add_f16_e32 v15, v6, v13
	v_add_f16_sdwa v16, v13, v6 dst_sel:DWORD dst_unused:UNUSED_PAD src0_sel:WORD_1 src1_sel:WORD_1
	v_sub_f16_e32 v17, v6, v13
	v_sub_f16_sdwa v6, v6, v13 dst_sel:DWORD dst_unused:UNUSED_PAD src0_sel:WORD_1 src1_sel:WORD_1
	s_waitcnt vmcnt(7)
	v_lshrrev_b32_e32 v19, 16, v7
	v_fma_f16 v13, v17, v19, v15
	v_fma_f16 v22, v16, v19, v6
	v_fma_f16 v15, -v17, v19, v15
	v_fma_f16 v6, v16, v19, -v6
	v_fma_f16 v13, -v7, v16, v13
	v_fmac_f16_e32 v22, v17, v7
	v_fmac_f16_e32 v15, v7, v16
	;; [unrolled: 1-line block ×3, first 2 shown]
	v_pack_b32_f16 v7, v13, v22
	s_waitcnt vmcnt(6)
	v_lshrrev_b32_e32 v13, 16, v8
	v_pack_b32_f16 v6, v15, v6
	ds_write_b32 v24, v7 offset:576
	ds_write_b32 v2, v6 offset:13248
	ds_read_b32 v6, v24 offset:1152
	ds_read_b32 v7, v2 offset:12672
	s_waitcnt lgkmcnt(0)
	v_add_f16_e32 v15, v6, v7
	v_add_f16_sdwa v16, v7, v6 dst_sel:DWORD dst_unused:UNUSED_PAD src0_sel:WORD_1 src1_sel:WORD_1
	v_sub_f16_e32 v17, v6, v7
	v_sub_f16_sdwa v6, v6, v7 dst_sel:DWORD dst_unused:UNUSED_PAD src0_sel:WORD_1 src1_sel:WORD_1
	global_load_dword v7, v[3:4], off offset:1088
	v_fma_f16 v19, v17, v13, v15
	v_fma_f16 v22, v16, v13, v6
	v_fma_f16 v15, -v17, v13, v15
	v_fma_f16 v6, v16, v13, -v6
	v_fma_f16 v13, -v8, v16, v19
	v_fmac_f16_e32 v22, v17, v8
	v_fmac_f16_e32 v15, v8, v16
	;; [unrolled: 1-line block ×3, first 2 shown]
	v_add_nc_u32_e32 v19, 0x800, v24
	v_pack_b32_f16 v8, v13, v22
	s_waitcnt vmcnt(6)
	v_lshrrev_b32_e32 v13, 16, v9
	v_pack_b32_f16 v6, v15, v6
	ds_write_b32 v24, v8 offset:1152
	ds_write_b32 v2, v6 offset:12672
	ds_read_b32 v6, v24 offset:1728
	ds_read_b32 v8, v2 offset:12096
	global_load_dword v3, v[3:4], off offset:1664
	s_waitcnt lgkmcnt(0)
	v_add_f16_e32 v15, v6, v8
	v_add_f16_sdwa v16, v8, v6 dst_sel:DWORD dst_unused:UNUSED_PAD src0_sel:WORD_1 src1_sel:WORD_1
	v_sub_f16_e32 v17, v6, v8
	v_sub_f16_sdwa v6, v6, v8 dst_sel:DWORD dst_unused:UNUSED_PAD src0_sel:WORD_1 src1_sel:WORD_1
	v_fma_f16 v4, v17, v13, v15
	v_fma_f16 v8, v16, v13, v6
	v_fma_f16 v15, -v17, v13, v15
	v_fma_f16 v6, v16, v13, -v6
	v_fma_f16 v4, -v9, v16, v4
	v_fmac_f16_e32 v8, v17, v9
	v_fmac_f16_e32 v15, v9, v16
	;; [unrolled: 1-line block ×3, first 2 shown]
	v_mov_b32_e32 v17, 5
	v_pack_b32_f16 v4, v4, v8
	s_waitcnt vmcnt(6)
	v_lshrrev_b32_e32 v8, 16, v10
	v_pack_b32_f16 v6, v15, v6
	ds_write_b32 v24, v4 offset:1728
	ds_write_b32 v2, v6 offset:12096
	ds_read_b32 v4, v24 offset:2304
	ds_read_b32 v6, v2 offset:11520
	global_load_dword v0, v[0:1], off offset:192
	s_waitcnt lgkmcnt(0)
	v_add_f16_e32 v9, v4, v6
	v_add_f16_sdwa v13, v6, v4 dst_sel:DWORD dst_unused:UNUSED_PAD src0_sel:WORD_1 src1_sel:WORD_1
	v_sub_f16_e32 v15, v4, v6
	v_sub_f16_sdwa v4, v4, v6 dst_sel:DWORD dst_unused:UNUSED_PAD src0_sel:WORD_1 src1_sel:WORD_1
	v_fma_f16 v1, v15, v8, v9
	v_fma_f16 v6, v13, v8, v4
	v_fma_f16 v9, -v15, v8, v9
	v_fma_f16 v4, v13, v8, -v4
	v_fma_f16 v1, -v10, v13, v1
	v_fmac_f16_e32 v6, v15, v10
	v_fmac_f16_e32 v9, v10, v13
	v_fmac_f16_e32 v4, v15, v10
	v_pack_b32_f16 v1, v1, v6
	s_waitcnt vmcnt(6)
	v_lshrrev_b32_e32 v6, 16, v11
	v_pack_b32_f16 v4, v9, v4
	ds_write_b32 v24, v1 offset:2304
	ds_write_b32 v2, v4 offset:11520
	ds_read_b32 v1, v24 offset:2880
	ds_read_b32 v4, v2 offset:10944
	s_waitcnt lgkmcnt(0)
	v_add_f16_e32 v8, v1, v4
	v_add_f16_sdwa v9, v4, v1 dst_sel:DWORD dst_unused:UNUSED_PAD src0_sel:WORD_1 src1_sel:WORD_1
	v_sub_f16_e32 v10, v1, v4
	v_sub_f16_sdwa v1, v1, v4 dst_sel:DWORD dst_unused:UNUSED_PAD src0_sel:WORD_1 src1_sel:WORD_1
	v_fma_f16 v4, v10, v6, v8
	v_fma_f16 v13, v9, v6, v1
	v_fma_f16 v8, -v10, v6, v8
	v_fma_f16 v1, v9, v6, -v1
	s_waitcnt vmcnt(5)
	v_lshrrev_b32_e32 v6, 16, v12
	v_fma_f16 v4, -v11, v9, v4
	v_fmac_f16_e32 v13, v10, v11
	v_fmac_f16_e32 v8, v11, v9
	v_fmac_f16_e32 v1, v10, v11
	v_pack_b32_f16 v4, v4, v13
	v_pack_b32_f16 v1, v8, v1
	ds_write_b32 v24, v4 offset:2880
	ds_write_b32 v2, v1 offset:10944
	ds_read_b32 v1, v24 offset:3456
	ds_read_b32 v4, v2 offset:10368
	s_waitcnt lgkmcnt(0)
	v_add_f16_e32 v8, v1, v4
	v_add_f16_sdwa v9, v4, v1 dst_sel:DWORD dst_unused:UNUSED_PAD src0_sel:WORD_1 src1_sel:WORD_1
	v_sub_f16_e32 v10, v1, v4
	v_sub_f16_sdwa v1, v1, v4 dst_sel:DWORD dst_unused:UNUSED_PAD src0_sel:WORD_1 src1_sel:WORD_1
	v_fma_f16 v4, v10, v6, v8
	v_fma_f16 v11, v9, v6, v1
	v_fma_f16 v8, -v10, v6, v8
	v_fma_f16 v1, v9, v6, -v1
	s_waitcnt vmcnt(4)
	v_lshrrev_b32_e32 v6, 16, v5
	v_fma_f16 v4, -v12, v9, v4
	v_fmac_f16_e32 v11, v10, v12
	v_fmac_f16_e32 v8, v12, v9
	;; [unrolled: 1-line block ×3, first 2 shown]
	v_pack_b32_f16 v4, v4, v11
	v_pack_b32_f16 v1, v8, v1
	ds_write_b32 v24, v4 offset:3456
	ds_write_b32 v2, v1 offset:10368
	ds_read_b32 v1, v24 offset:4032
	ds_read_b32 v4, v2 offset:9792
	s_waitcnt lgkmcnt(0)
	v_add_f16_e32 v8, v1, v4
	v_add_f16_sdwa v9, v4, v1 dst_sel:DWORD dst_unused:UNUSED_PAD src0_sel:WORD_1 src1_sel:WORD_1
	v_sub_f16_e32 v10, v1, v4
	v_sub_f16_sdwa v1, v1, v4 dst_sel:DWORD dst_unused:UNUSED_PAD src0_sel:WORD_1 src1_sel:WORD_1
	v_fma_f16 v4, v10, v6, v8
	v_fma_f16 v11, v9, v6, v1
	v_fma_f16 v8, -v10, v6, v8
	v_fma_f16 v1, v9, v6, -v1
	v_fma_f16 v4, -v5, v9, v4
	v_fmac_f16_e32 v11, v10, v5
	v_fmac_f16_e32 v8, v5, v9
	;; [unrolled: 1-line block ×3, first 2 shown]
	s_waitcnt vmcnt(3)
	v_lshrrev_b32_e32 v5, 16, v14
	v_pack_b32_f16 v4, v4, v11
	v_pack_b32_f16 v1, v8, v1
	ds_write_b32 v24, v4 offset:4032
	ds_write_b32 v2, v1 offset:9792
	ds_read_b32 v1, v24 offset:4608
	ds_read_b32 v4, v2 offset:9216
	s_waitcnt lgkmcnt(0)
	v_add_f16_e32 v6, v1, v4
	v_add_f16_sdwa v8, v4, v1 dst_sel:DWORD dst_unused:UNUSED_PAD src0_sel:WORD_1 src1_sel:WORD_1
	v_sub_f16_e32 v9, v1, v4
	v_sub_f16_sdwa v1, v1, v4 dst_sel:DWORD dst_unused:UNUSED_PAD src0_sel:WORD_1 src1_sel:WORD_1
	v_fma_f16 v4, v9, v5, v6
	v_fma_f16 v10, v8, v5, v1
	v_fma_f16 v6, -v9, v5, v6
	v_fma_f16 v1, v8, v5, -v1
	v_fma_f16 v4, -v14, v8, v4
	v_fmac_f16_e32 v10, v9, v14
	v_fmac_f16_e32 v6, v14, v8
	;; [unrolled: 1-line block ×3, first 2 shown]
	v_pack_b32_f16 v4, v4, v10
	v_pack_b32_f16 v1, v6, v1
	ds_write_b32 v24, v4 offset:4608
	ds_write_b32 v2, v1 offset:9216
	ds_read_b32 v1, v24 offset:5184
	ds_read_b32 v4, v2 offset:8640
	s_waitcnt lgkmcnt(0)
	v_add_f16_e32 v6, v1, v4
	v_add_f16_sdwa v8, v4, v1 dst_sel:DWORD dst_unused:UNUSED_PAD src0_sel:WORD_1 src1_sel:WORD_1
	v_sub_f16_e32 v9, v1, v4
	v_sub_f16_sdwa v1, v1, v4 dst_sel:DWORD dst_unused:UNUSED_PAD src0_sel:WORD_1 src1_sel:WORD_1
	s_waitcnt vmcnt(2)
	v_lshrrev_b32_e32 v5, 16, v7
	v_fma_f16 v4, v9, v5, v6
	v_fma_f16 v10, v8, v5, v1
	v_fma_f16 v6, -v9, v5, v6
	v_fma_f16 v1, v8, v5, -v1
	v_fma_f16 v4, -v7, v8, v4
	v_fmac_f16_e32 v10, v9, v7
	v_fmac_f16_e32 v6, v7, v8
	;; [unrolled: 1-line block ×3, first 2 shown]
	v_pack_b32_f16 v4, v4, v10
	v_pack_b32_f16 v1, v6, v1
	ds_write_b32 v24, v4 offset:5184
	ds_write_b32 v2, v1 offset:8640
	ds_read_b32 v1, v24 offset:5760
	ds_read_b32 v4, v2 offset:8064
	s_waitcnt vmcnt(1)
	v_lshrrev_b32_e32 v5, 16, v3
	s_waitcnt lgkmcnt(0)
	v_add_f16_e32 v6, v1, v4
	v_add_f16_sdwa v7, v4, v1 dst_sel:DWORD dst_unused:UNUSED_PAD src0_sel:WORD_1 src1_sel:WORD_1
	v_sub_f16_e32 v8, v1, v4
	v_sub_f16_sdwa v1, v1, v4 dst_sel:DWORD dst_unused:UNUSED_PAD src0_sel:WORD_1 src1_sel:WORD_1
	v_fma_f16 v4, v8, v5, v6
	v_fma_f16 v9, v7, v5, v1
	v_fma_f16 v6, -v8, v5, v6
	v_fma_f16 v1, v7, v5, -v1
	v_fma_f16 v4, -v3, v7, v4
	v_fmac_f16_e32 v9, v8, v3
	v_fmac_f16_e32 v6, v3, v7
	;; [unrolled: 1-line block ×3, first 2 shown]
	v_mov_b32_e32 v8, 0xaaab
	v_pack_b32_f16 v3, v4, v9
	v_mul_u32_u24_e32 v4, 6, v18
	v_pack_b32_f16 v1, v6, v1
	ds_write_b32 v24, v3 offset:5760
	ds_write_b32 v2, v1 offset:8064
	ds_read_b32 v1, v24 offset:6336
	ds_read_b32 v3, v2 offset:7488
	s_waitcnt vmcnt(0)
	v_lshrrev_b32_e32 v6, 16, v0
	v_lshl_add_u32 v22, v4, 2, 0
	v_mul_lo_u16 v4, 0xab, v23
	v_mul_u32_u24_sdwa v5, v35, v8 dst_sel:DWORD dst_unused:UNUSED_PAD src0_sel:WORD_0 src1_sel:DWORD
	v_mul_lo_u16 v23, v23, 57
	v_add_nc_u32_e32 v49, 0xd8c, v22
	v_lshrrev_b16 v37, 10, v4
	v_lshrrev_b32_e32 v40, 18, v5
	v_add_nc_u32_e32 v51, 0x1b0c, v22
	v_add_nc_u32_e32 v52, 0xc00, v22
	;; [unrolled: 1-line block ×4, first 2 shown]
	v_mul_lo_u16 v13, v40, 6
	v_add_nc_u32_e32 v56, 0x2800, v22
	v_add_nc_u32_e32 v36, 0xd84, v22
	;; [unrolled: 1-line block ×4, first 2 shown]
	v_sub_nc_u16 v42, v35, v13
	s_waitcnt lgkmcnt(0)
	v_add_f16_e32 v7, v1, v3
	v_add_f16_sdwa v9, v3, v1 dst_sel:DWORD dst_unused:UNUSED_PAD src0_sel:WORD_1 src1_sel:WORD_1
	v_sub_f16_e32 v10, v1, v3
	v_sub_f16_sdwa v1, v1, v3 dst_sel:DWORD dst_unused:UNUSED_PAD src0_sel:WORD_1 src1_sel:WORD_1
	v_fma_f16 v3, v10, v6, v7
	v_fma_f16 v11, v9, v6, v1
	v_fma_f16 v7, -v10, v6, v7
	v_fma_f16 v1, v9, v6, -v1
	v_fma_f16 v3, -v0, v9, v3
	v_fmac_f16_e32 v11, v10, v0
	v_fmac_f16_e32 v7, v0, v9
	;; [unrolled: 1-line block ×3, first 2 shown]
	v_pack_b32_f16 v0, v3, v11
	v_mul_lo_u16 v11, v37, 6
	v_pack_b32_f16 v1, v7, v1
	ds_write_b32 v24, v0 offset:6336
	ds_write_b32 v2, v1 offset:7488
	v_sub_nc_u16 v41, v18, v11
	s_waitcnt lgkmcnt(0)
	s_barrier
	buffer_gl0_inv
	v_mul_u32_u24_sdwa v47, v41, v17 dst_sel:DWORD dst_unused:UNUSED_PAD src0_sel:BYTE_0 src1_sel:DWORD
	s_barrier
	buffer_gl0_inv
	ds_read2_b32 v[0:1], v24 offset1:144
	ds_read2_b32 v[2:3], v19 offset0:64 offset1:208
	ds_read2_b32 v[4:5], v26 offset1:144
	ds_read2_b32 v[6:7], v27 offset0:64 offset1:208
	;; [unrolled: 2-line block ×3, first 2 shown]
	ds_read2_b32 v[13:14], v29 offset0:32 offset1:176
	ds_read2_b32 v[15:16], v31 offset0:96 offset1:240
	;; [unrolled: 1-line block ×5, first 2 shown]
	v_lshlrev_b32_e32 v57, 2, v47
	ds_read2_b32 v[47:48], v34 offset0:96 offset1:240
	s_waitcnt lgkmcnt(0)
	s_barrier
	buffer_gl0_inv
	v_pk_add_f16 v58, v0, v4
	v_pk_add_f16 v59, v2, v6
	;; [unrolled: 1-line block ×14, first 2 shown]
	v_pk_add_f16 v4, v4, v9 neg_lo:[0,1] neg_hi:[0,1]
	v_pk_add_f16 v6, v6, v11 neg_lo:[0,1] neg_hi:[0,1]
	v_pk_add_f16 v70, v14, v39
	v_pk_add_f16 v71, v16, v44
	v_pk_fma_f16 v0, v60, 0.5, v0 op_sel_hi:[1,0,1] neg_lo:[1,0,0] neg_hi:[1,0,0]
	v_pk_fma_f16 v2, v61, 0.5, v2 op_sel_hi:[1,0,1] neg_lo:[1,0,0] neg_hi:[1,0,0]
	v_pk_add_f16 v5, v5, v10 neg_lo:[0,1] neg_hi:[0,1]
	v_pk_add_f16 v7, v7, v12 neg_lo:[0,1] neg_hi:[0,1]
	v_pk_add_f16 v9, v58, v9
	v_pk_add_f16 v11, v59, v11
	v_pk_fma_f16 v1, v64, 0.5, v1 op_sel_hi:[1,0,1] neg_lo:[1,0,0] neg_hi:[1,0,0]
	v_pk_fma_f16 v3, v65, 0.5, v3 op_sel_hi:[1,0,1] neg_lo:[1,0,0] neg_hi:[1,0,0]
	;; [unrolled: 6-line block ×4, first 2 shown]
	v_pk_add_f16 v46, v70, v46
	v_pk_add_f16 v48, v71, v48
	v_pk_fma_f16 v59, 0x3aee, v4, v0 op_sel:[0,0,1] op_sel_hi:[0,1,0] neg_lo:[0,1,0] neg_hi:[0,1,0]
	v_pk_fma_f16 v0, 0x3aee, v4, v0 op_sel:[0,0,1] op_sel_hi:[0,1,0]
	v_pk_fma_f16 v4, 0x3aee, v6, v2 op_sel:[0,0,1] op_sel_hi:[0,1,0]
	v_pk_fma_f16 v2, 0x3aee, v6, v2 op_sel:[0,0,1] op_sel_hi:[0,1,0] neg_lo:[0,1,0] neg_hi:[0,1,0]
	v_pk_add_f16 v58, v9, v11
	v_pk_add_f16 v6, v9, v11 neg_lo:[0,1] neg_hi:[0,1]
	v_pk_fma_f16 v11, 0x3aee, v5, v1 op_sel:[0,0,1] op_sel_hi:[0,1,0] neg_lo:[0,1,0] neg_hi:[0,1,0]
	v_pk_fma_f16 v1, 0x3aee, v5, v1 op_sel:[0,0,1] op_sel_hi:[0,1,0]
	v_pk_fma_f16 v5, 0x3aee, v7, v3 op_sel:[0,0,1] op_sel_hi:[0,1,0]
	v_pk_fma_f16 v3, 0x3aee, v7, v3 op_sel:[0,0,1] op_sel_hi:[0,1,0] neg_lo:[0,1,0] neg_hi:[0,1,0]
	v_pk_add_f16 v9, v10, v12
	v_pk_add_f16 v7, v10, v12 neg_lo:[0,1] neg_hi:[0,1]
	;; [unrolled: 6-line block ×4, first 2 shown]
	v_lshrrev_b32_e32 v46, 16, v2
	v_mul_f16_e32 v48, 0xbaee, v4
	v_pk_mul_f16 v60, 0x3aee, v2 op_sel_hi:[0,1]
	v_lshrrev_b32_e32 v61, 16, v4
	v_mul_f16_e32 v2, -0.5, v2
	v_pk_mul_f16 v64, 0x3aee, v3 op_sel_hi:[0,1]
	v_lshrrev_b32_e32 v62, 16, v3
	v_mul_f16_e32 v63, 0xbaee, v5
	v_lshrrev_b32_e32 v65, 16, v5
	v_mul_f16_e32 v3, -0.5, v3
	v_pk_mul_f16 v68, 0x3aee, v15 op_sel_hi:[0,1]
	v_lshrrev_b32_e32 v66, 16, v15
	v_mul_f16_e32 v67, 0xbaee, v38
	v_lshrrev_b32_e32 v69, 16, v38
	v_mul_f16_e32 v15, -0.5, v15
	v_lshrrev_b32_e32 v70, 16, v16
	v_mul_f16_e32 v71, 0xbaee, v39
	v_pk_mul_f16 v72, 0x3aee, v16 op_sel_hi:[0,1]
	v_lshrrev_b32_e32 v73, 16, v39
	v_mul_f16_e32 v16, -0.5, v16
	v_fmac_f16_e32 v48, 0.5, v46
	v_pk_fma_f16 v46, 0xb8003800, v4, v60 op_sel:[0,0,1] op_sel_hi:[1,1,0]
	v_pk_fma_f16 v4, 0xb8003800, v4, v60 op_sel:[0,0,1] op_sel_hi:[1,1,0] neg_lo:[0,0,1] neg_hi:[0,0,1]
	v_fmac_f16_e32 v2, 0x3aee, v61
	v_pk_fma_f16 v60, 0xb8003800, v5, v64 op_sel:[0,0,1] op_sel_hi:[1,1,0]
	v_pk_fma_f16 v5, 0xb8003800, v5, v64 op_sel:[0,0,1] op_sel_hi:[1,1,0] neg_lo:[0,0,1] neg_hi:[0,0,1]
	v_fmac_f16_e32 v63, 0.5, v62
	v_fmac_f16_e32 v3, 0x3aee, v65
	v_pk_fma_f16 v61, 0xb8003800, v38, v68 op_sel:[0,0,1] op_sel_hi:[1,1,0]
	v_pk_fma_f16 v38, 0xb8003800, v38, v68 op_sel:[0,0,1] op_sel_hi:[1,1,0] neg_lo:[0,0,1] neg_hi:[0,0,1]
	v_fmac_f16_e32 v67, 0.5, v66
	v_fmac_f16_e32 v15, 0x3aee, v69
	v_fmac_f16_e32 v71, 0.5, v70
	v_pk_fma_f16 v62, 0xb8003800, v39, v72 op_sel:[0,0,1] op_sel_hi:[1,1,0]
	v_pk_fma_f16 v39, 0xb8003800, v39, v72 op_sel:[0,0,1] op_sel_hi:[1,1,0] neg_lo:[0,0,1] neg_hi:[0,0,1]
	v_fmac_f16_e32 v16, 0x3aee, v73
	v_bfi_b32 v64, 0xffff, v46, v4
	v_alignbit_b32 v74, v0, v59, 16
	v_alignbit_b32 v75, v59, v0, 16
	v_pack_b32_f16 v46, v48, v46
	v_add_f16_sdwa v48, v59, v48 dst_sel:DWORD dst_unused:UNUSED_PAD src0_sel:WORD_1 src1_sel:DWORD
	v_alignbit_b32 v4, v2, v4, 16
	v_add_f16_e32 v2, v59, v2
	v_bfi_b32 v59, 0xffff, v60, v5
	v_alignbit_b32 v76, v1, v11, 16
	v_alignbit_b32 v77, v11, v1, 16
	v_pack_b32_f16 v60, v63, v60
	v_add_f16_sdwa v63, v11, v63 dst_sel:DWORD dst_unused:UNUSED_PAD src0_sel:WORD_1 src1_sel:DWORD
	v_alignbit_b32 v5, v3, v5, 16
	v_add_f16_e32 v3, v11, v3
	v_bfi_b32 v11, 0xffff, v61, v38
	v_alignbit_b32 v78, v13, v12, 16
	v_alignbit_b32 v79, v12, v13, 16
	;; [unrolled: 1-line block ×3, first 2 shown]
	v_pack_b32_f16 v61, v67, v61
	v_add_f16_sdwa v65, v12, v67 dst_sel:DWORD dst_unused:UNUSED_PAD src0_sel:WORD_1 src1_sel:DWORD
	v_alignbit_b32 v38, v15, v38, 16
	v_add_f16_e32 v12, v12, v15
	v_bfi_b32 v15, 0xffff, v62, v39
	v_pack_b32_f16 v62, v71, v62
	v_alignbit_b32 v81, v47, v14, 16
	v_alignbit_b32 v39, v16, v39, 16
	v_pk_add_f16 v0, v0, v64
	v_pk_add_f16 v1, v1, v59
	v_add_f16_sdwa v66, v47, v71 dst_sel:DWORD dst_unused:UNUSED_PAD src0_sel:WORD_1 src1_sel:DWORD
	v_add_f16_e32 v16, v47, v16
	v_pk_add_f16 v46, v74, v46 neg_lo:[0,1] neg_hi:[0,1]
	v_pk_add_f16 v47, v76, v60 neg_lo:[0,1] neg_hi:[0,1]
	v_pk_add_f16 v11, v13, v11
	v_pk_add_f16 v4, v75, v4 neg_lo:[0,1] neg_hi:[0,1]
	v_pk_add_f16 v5, v77, v5 neg_lo:[0,1] neg_hi:[0,1]
	;; [unrolled: 1-line block ×3, first 2 shown]
	v_pk_add_f16 v14, v14, v15
	v_pk_add_f16 v15, v80, v62 neg_lo:[0,1] neg_hi:[0,1]
	v_pk_add_f16 v38, v79, v38 neg_lo:[0,1] neg_hi:[0,1]
	;; [unrolled: 1-line block ×3, first 2 shown]
	v_alignbit_b32 v2, v2, v0, 16
	v_pack_b32_f16 v0, v48, v0
	v_alignbit_b32 v3, v3, v1, 16
	v_pack_b32_f16 v1, v63, v1
	ds_write2_b32 v22, v6, v46 offset0:3 offset1:4
	ds_write2_b32 v22, v58, v4 offset1:5
	ds_write2_b32 v49, v7, v47 offset1:1
	ds_write2_b32 v52, v9, v5 offset0:96 offset1:101
	v_alignbit_b32 v4, v12, v11, 16
	v_pack_b32_f16 v5, v65, v11
	ds_write2_b32 v51, v43, v13 offset1:1
	ds_write2_b32 v53, v10, v38 offset0:192 offset1:197
	v_alignbit_b32 v6, v16, v14, 16
	v_pack_b32_f16 v7, v66, v14
	ds_write2_b32 v55, v44, v15 offset1:1
	ds_write2_b32 v56, v45, v39 offset0:32 offset1:37
	ds_write2_b32 v22, v0, v2 offset0:1 offset1:2
	ds_write2_b32 v36, v1, v3 offset1:1
	ds_write2_b32 v50, v5, v4 offset1:1
	;; [unrolled: 1-line block ×3, first 2 shown]
	v_add_nc_u32_e32 v22, 0x120, v18
	s_waitcnt lgkmcnt(0)
	s_barrier
	buffer_gl0_inv
	global_load_dwordx4 v[0:3], v57, s[8:9]
	v_mul_u32_u24_sdwa v9, v22, v8 dst_sel:DWORD dst_unused:UNUSED_PAD src0_sel:WORD_0 src1_sel:DWORD
	v_mul_u32_u24_sdwa v4, v42, v17 dst_sel:DWORD dst_unused:UNUSED_PAD src0_sel:WORD_0 src1_sel:DWORD
	v_add_nc_u32_e32 v16, 0x1b0, v18
	v_mov_b32_e32 v51, 0xe38f
	v_mov_b32_e32 v52, 0x90
	v_lshrrev_b32_e32 v43, 18, v9
	v_lshlrev_b32_e32 v36, 2, v4
	v_mul_u32_u24_sdwa v8, v16, v8 dst_sel:DWORD dst_unused:UNUSED_PAD src0_sel:WORD_0 src1_sel:DWORD
	v_mul_u32_u24_e32 v56, 0x90, v40
	v_mul_lo_u16 v9, v43, 6
	global_load_dwordx4 v[4:7], v36, s[8:9]
	v_lshrrev_b32_e32 v50, 18, v8
	v_mul_u32_u24_e32 v43, 0x90, v43
	v_sub_nc_u16 v48, v22, v9
	v_mul_lo_u16 v9, v50, 6
	v_mul_u32_u24_e32 v50, 0x90, v50
	v_mul_u32_u24_sdwa v8, v48, v17 dst_sel:DWORD dst_unused:UNUSED_PAD src0_sel:WORD_0 src1_sel:DWORD
	v_sub_nc_u16 v49, v16, v9
	v_lshlrev_b32_e32 v38, 2, v8
	v_mul_u32_u24_sdwa v12, v49, v17 dst_sel:DWORD dst_unused:UNUSED_PAD src0_sel:WORD_0 src1_sel:DWORD
	global_load_dwordx4 v[8:11], v38, s[8:9]
	v_lshlrev_b32_e32 v39, 2, v12
	s_clause 0x4
	global_load_dwordx4 v[12:15], v39, s[8:9]
	global_load_dword v47, v57, s[8:9] offset:16
	global_load_dword v46, v36, s[8:9] offset:16
	;; [unrolled: 1-line block ×4, first 2 shown]
	v_mul_u32_u24_sdwa v36, v35, v51 dst_sel:DWORD dst_unused:UNUSED_PAD src0_sel:WORD_0 src1_sel:DWORD
	v_lshrrev_b16 v38, 11, v23
	v_mul_u32_u24_sdwa v23, v37, v52 dst_sel:DWORD dst_unused:UNUSED_PAD src0_sel:WORD_0 src1_sel:DWORD
	v_lshrrev_b32_e32 v39, 21, v36
	v_mov_b32_e32 v36, 2
	v_mul_lo_u16 v37, v38, 36
	v_mul_lo_u16 v52, v39, 36
	v_lshlrev_b32_sdwa v57, v36, v41 dst_sel:DWORD dst_unused:UNUSED_PAD src0_sel:DWORD src1_sel:BYTE_0
	v_lshlrev_b32_sdwa v58, v36, v42 dst_sel:DWORD dst_unused:UNUSED_PAD src0_sel:DWORD src1_sel:WORD_0
	v_lshlrev_b32_sdwa v59, v36, v48 dst_sel:DWORD dst_unused:UNUSED_PAD src0_sel:DWORD src1_sel:WORD_0
	;; [unrolled: 1-line block ×3, first 2 shown]
	v_sub_nc_u16 v40, v35, v52
	ds_read2_b32 v[41:42], v27 offset0:64 offset1:208
	ds_read2_b32 v[48:49], v19 offset0:64 offset1:208
	ds_read2_b32 v[52:53], v25 offset1:144
	ds_read2_b32 v[54:55], v26 offset1:144
	v_add3_u32 v72, 0, v23, v57
	v_add3_u32 v73, 0, v56, v58
	;; [unrolled: 1-line block ×4, first 2 shown]
	ds_read2_b32 v[56:57], v31 offset0:96 offset1:240
	ds_read2_b32 v[58:59], v30 offset0:32 offset1:176
	;; [unrolled: 1-line block ×4, first 2 shown]
	v_sub_nc_u16 v37, v18, v37
	v_mul_u32_u24_sdwa v64, v37, v17 dst_sel:DWORD dst_unused:UNUSED_PAD src0_sel:BYTE_0 src1_sel:DWORD
	v_lshlrev_b32_e32 v23, 2, v64
	s_waitcnt lgkmcnt(7)
	v_lshrrev_b32_e32 v74, 16, v41
	s_waitcnt lgkmcnt(6)
	v_lshrrev_b32_e32 v75, 16, v48
	;; [unrolled: 2-line block ×4, first 2 shown]
	v_lshrrev_b32_e32 v78, 16, v49
	v_lshrrev_b32_e32 v81, 16, v53
	;; [unrolled: 1-line block ×4, first 2 shown]
	ds_read2_b32 v[64:65], v28 offset0:64 offset1:208
	ds_read2_b32 v[66:67], v34 offset0:96 offset1:240
	ds_read2_b32 v[68:69], v24 offset1:144
	ds_read2_b32 v[70:71], v29 offset0:32 offset1:176
	s_waitcnt lgkmcnt(7)
	v_lshrrev_b32_e32 v82, 16, v56
	s_waitcnt lgkmcnt(6)
	v_lshrrev_b32_e32 v83, 16, v58
	;; [unrolled: 2-line block ×4, first 2 shown]
	v_lshrrev_b32_e32 v86, 16, v57
	v_lshrrev_b32_e32 v87, 16, v59
	s_waitcnt vmcnt(0) lgkmcnt(0)
	s_barrier
	buffer_gl0_inv
	v_mul_f16_sdwa v88, v0, v48 dst_sel:DWORD dst_unused:UNUSED_PAD src0_sel:WORD_1 src1_sel:DWORD
	v_mul_f16_sdwa v89, v0, v75 dst_sel:DWORD dst_unused:UNUSED_PAD src0_sel:WORD_1 src1_sel:DWORD
	;; [unrolled: 1-line block ×3, first 2 shown]
	v_mul_f16_sdwa v92, v41, v2 dst_sel:DWORD dst_unused:UNUSED_PAD src0_sel:DWORD src1_sel:WORD_1
	v_mul_f16_sdwa v91, v1, v77 dst_sel:DWORD dst_unused:UNUSED_PAD src0_sel:WORD_1 src1_sel:DWORD
	v_fma_f16 v75, v0, v75, -v88
	v_mul_f16_sdwa v88, v52, v3 dst_sel:DWORD dst_unused:UNUSED_PAD src0_sel:DWORD src1_sel:WORD_1
	v_fma_f16 v77, v1, v77, -v90
	v_mul_f16_sdwa v90, v74, v2 dst_sel:DWORD dst_unused:UNUSED_PAD src0_sel:DWORD src1_sel:WORD_1
	;; [unrolled: 2-line block ×4, first 2 shown]
	v_fmac_f16_e32 v90, v41, v2
	v_mul_f16_sdwa v41, v80, v6 dst_sel:DWORD dst_unused:UNUSED_PAD src0_sel:DWORD src1_sel:WORD_1
	v_fmac_f16_e32 v92, v52, v3
	v_mul_f16_sdwa v3, v49, v4 dst_sel:DWORD dst_unused:UNUSED_PAD src0_sel:DWORD src1_sel:WORD_1
	;; [unrolled: 2-line block ×4, first 2 shown]
	v_mul_f16_sdwa v48, v55, v5 dst_sel:DWORD dst_unused:UNUSED_PAD src0_sel:DWORD src1_sel:WORD_1
	v_fmac_f16_e32 v41, v42, v6
	v_fmac_f16_e32 v49, v53, v7
	v_mul_f16_sdwa v53, v53, v7 dst_sel:DWORD dst_unused:UNUSED_PAD src0_sel:DWORD src1_sel:WORD_1
	v_mul_f16_sdwa v42, v42, v6 dst_sel:DWORD dst_unused:UNUSED_PAD src0_sel:DWORD src1_sel:WORD_1
	v_fma_f16 v3, v78, v4, -v3
	v_fmac_f16_e32 v2, v55, v5
	v_fma_f16 v5, v79, v5, -v48
	v_fma_f16 v7, v81, v7, -v53
	v_fma_f16 v6, v80, v6, -v42
	v_mul_f16_sdwa v53, v56, v8 dst_sel:DWORD dst_unused:UNUSED_PAD src0_sel:DWORD src1_sel:WORD_1
	v_mul_f16_sdwa v78, v58, v9 dst_sel:DWORD dst_unused:UNUSED_PAD src0_sel:DWORD src1_sel:WORD_1
	;; [unrolled: 1-line block ×5, first 2 shown]
	v_fma_f16 v53, v82, v8, -v53
	v_mul_f16_sdwa v82, v62, v11 dst_sel:DWORD dst_unused:UNUSED_PAD src0_sel:DWORD src1_sel:WORD_1
	v_fma_f16 v78, v83, v9, -v78
	v_mul_f16_sdwa v83, v84, v10 dst_sel:DWORD dst_unused:UNUSED_PAD src0_sel:DWORD src1_sel:WORD_1
	v_fmac_f16_e32 v91, v1, v54
	v_lshrrev_b32_e32 v1, 16, v63
	v_fma_f16 v79, v84, v10, -v79
	v_mul_f16_sdwa v84, v85, v11 dst_sel:DWORD dst_unused:UNUSED_PAD src0_sel:DWORD src1_sel:WORD_1
	v_fma_f16 v82, v85, v11, -v82
	v_mul_f16_sdwa v85, v86, v12 dst_sel:DWORD dst_unused:UNUSED_PAD src0_sel:DWORD src1_sel:WORD_1
	v_fmac_f16_e32 v83, v60, v10
	v_mul_f16_sdwa v10, v87, v13 dst_sel:DWORD dst_unused:UNUSED_PAD src0_sel:DWORD src1_sel:WORD_1
	v_lshrrev_b32_e32 v0, 16, v61
	v_lshrrev_b32_e32 v4, 16, v67
	v_fmac_f16_e32 v81, v58, v9
	v_fmac_f16_e32 v84, v62, v11
	v_mul_f16_sdwa v11, v57, v12 dst_sel:DWORD dst_unused:UNUSED_PAD src0_sel:DWORD src1_sel:WORD_1
	v_fmac_f16_e32 v85, v57, v12
	v_mul_f16_sdwa v57, v59, v13 dst_sel:DWORD dst_unused:UNUSED_PAD src0_sel:DWORD src1_sel:WORD_1
	;; [unrolled: 2-line block ×3, first 2 shown]
	v_mul_f16_sdwa v59, v61, v14 dst_sel:DWORD dst_unused:UNUSED_PAD src0_sel:DWORD src1_sel:WORD_1
	v_mul_f16_sdwa v60, v63, v15 dst_sel:DWORD dst_unused:UNUSED_PAD src0_sel:DWORD src1_sel:WORD_1
	v_lshrrev_b32_e32 v55, 16, v66
	v_fmac_f16_e32 v80, v56, v8
	v_mul_f16_sdwa v56, v0, v14 dst_sel:DWORD dst_unused:UNUSED_PAD src0_sel:DWORD src1_sel:WORD_1
	v_fmac_f16_e32 v58, v63, v15
	v_fma_f16 v0, v0, v14, -v59
	v_fma_f16 v1, v1, v15, -v60
	v_mul_f16_sdwa v15, v4, v44 dst_sel:DWORD dst_unused:UNUSED_PAD src0_sel:DWORD src1_sel:WORD_1
	v_mul_f16_sdwa v59, v67, v44 dst_sel:DWORD dst_unused:UNUSED_PAD src0_sel:DWORD src1_sel:WORD_1
	v_lshrrev_b32_e32 v52, 16, v64
	v_fmac_f16_e32 v56, v61, v14
	v_mul_f16_sdwa v14, v55, v45 dst_sel:DWORD dst_unused:UNUSED_PAD src0_sel:DWORD src1_sel:WORD_1
	v_fmac_f16_e32 v15, v67, v44
	v_fma_f16 v4, v4, v44, -v59
	v_lshrrev_b32_e32 v54, 16, v65
	v_mul_f16_sdwa v61, v64, v47 dst_sel:DWORD dst_unused:UNUSED_PAD src0_sel:DWORD src1_sel:WORD_1
	v_mul_f16_sdwa v62, v52, v47 dst_sel:DWORD dst_unused:UNUSED_PAD src0_sel:DWORD src1_sel:WORD_1
	v_fma_f16 v11, v86, v12, -v11
	v_mul_f16_sdwa v12, v65, v46 dst_sel:DWORD dst_unused:UNUSED_PAD src0_sel:DWORD src1_sel:WORD_1
	v_fma_f16 v13, v87, v13, -v57
	v_mul_f16_sdwa v57, v66, v45 dst_sel:DWORD dst_unused:UNUSED_PAD src0_sel:DWORD src1_sel:WORD_1
	v_fmac_f16_e32 v14, v66, v45
	v_add_f16_e32 v66, v56, v15
	v_add_f16_e32 v86, v0, v4
	v_lshrrev_b32_e32 v48, 16, v69
	v_lshrrev_b32_e32 v42, 16, v68
	v_mul_f16_sdwa v63, v54, v46 dst_sel:DWORD dst_unused:UNUSED_PAD src0_sel:DWORD src1_sel:WORD_1
	v_fma_f16 v52, v52, v47, -v61
	v_fmac_f16_e32 v62, v64, v47
	v_fma_f16 v12, v54, v46, -v12
	v_add_f16_e32 v61, v68, v91
	v_add_f16_e32 v64, v10, v58
	;; [unrolled: 1-line block ×4, first 2 shown]
	v_fmac_f16_e32 v85, -0.5, v66
	v_add_f16_e32 v66, v77, v76
	v_fmac_f16_e32 v11, -0.5, v86
	v_add_f16_e32 v86, v89, v90
	v_lshrrev_b32_e32 v8, 16, v71
	v_lshrrev_b32_e32 v9, 16, v70
	v_fmac_f16_e32 v63, v65, v46
	v_fma_f16 v46, v55, v45, -v57
	v_add_f16_e32 v44, v2, v49
	v_add_f16_e32 v54, v88, v41
	;; [unrolled: 1-line block ×3, first 2 shown]
	v_sub_f16_e32 v59, v5, v7
	v_add_f16_e32 v60, v91, v92
	v_add_f16_e32 v65, v71, v10
	v_sub_f16_e32 v91, v91, v92
	v_fmac_f16_e32 v71, -0.5, v64
	v_add_f16_e32 v64, v42, v77
	v_add_f16_e32 v61, v61, v92
	;; [unrolled: 1-line block ×3, first 2 shown]
	v_sub_f16_e32 v90, v90, v62
	v_fmac_f16_e32 v42, -0.5, v66
	v_add_f16_e32 v66, v74, v52
	v_add_f16_e32 v62, v86, v62
	;; [unrolled: 1-line block ×7, first 2 shown]
	v_sub_f16_e32 v41, v41, v63
	v_fmac_f16_e32 v69, -0.5, v44
	v_sub_f16_e32 v44, v13, v1
	v_fmac_f16_e32 v3, -0.5, v55
	v_add_f16_e32 v55, v70, v81
	v_sub_f16_e32 v77, v77, v76
	v_add_f16_e32 v64, v64, v76
	v_add_f16_e32 v76, v75, v74
	v_fmac_f16_e32 v89, -0.5, v92
	v_add_f16_e32 v92, v9, v78
	v_fmac_f16_e32 v75, -0.5, v66
	v_add_f16_e32 v66, v80, v83
	v_add_f16_e32 v7, v86, v7
	;; [unrolled: 1-line block ×3, first 2 shown]
	v_fmac_f16_e32 v48, -0.5, v5
	v_add_f16_e32 v5, v79, v46
	v_add_f16_e32 v54, v54, v63
	;; [unrolled: 1-line block ×4, first 2 shown]
	v_sub_f16_e32 v6, v6, v12
	v_sub_f16_e32 v0, v0, v4
	v_fmac_f16_e32 v88, -0.5, v47
	v_add_f16_e32 v47, v81, v84
	v_sub_f16_e32 v2, v2, v49
	v_add_f16_e32 v45, v45, v49
	v_add_f16_e32 v49, v83, v14
	v_sub_f16_e32 v83, v83, v14
	v_sub_f16_e32 v79, v79, v46
	;; [unrolled: 1-line block ×3, first 2 shown]
	v_add_f16_e32 v12, v57, v12
	v_add_f16_e32 v55, v55, v84
	;; [unrolled: 1-line block ×5, first 2 shown]
	v_fmac_f16_e32 v53, -0.5, v5
	v_add_f16_e32 v5, v65, v58
	v_add_f16_e32 v1, v63, v1
	v_fmac_f16_e32 v8, -0.5, v13
	v_add_f16_e32 v13, v67, v15
	v_add_f16_e32 v4, v87, v4
	v_sub_f16_e32 v74, v74, v52
	v_add_f16_e32 v52, v76, v52
	v_sub_f16_e32 v56, v56, v15
	v_fma_f16 v47, -0.5, v47, v70
	v_fmamk_f16 v63, v90, 0x3aee, v75
	v_fmac_f16_e32 v75, 0xbaee, v90
	v_add_f16_e32 v70, v55, v14
	v_sub_f16_e32 v14, v55, v14
	v_add_f16_e32 v55, v57, v46
	v_sub_f16_e32 v46, v57, v46
	v_fmamk_f16 v57, v10, 0x3aee, v8
	v_fmac_f16_e32 v8, 0xbaee, v10
	v_add_f16_e32 v10, v5, v13
	v_sub_f16_e32 v5, v5, v13
	v_add_f16_e32 v13, v1, v4
	v_sub_f16_e32 v1, v1, v4
	v_add_f16_e32 v65, v61, v62
	v_sub_f16_e32 v61, v61, v62
	v_add_f16_e32 v62, v64, v52
	v_sub_f16_e32 v52, v64, v52
	v_fmamk_f16 v64, v2, 0x3aee, v48
	v_fmac_f16_e32 v48, 0xbaee, v2
	v_add_f16_e32 v2, v45, v54
	v_sub_f16_e32 v45, v45, v54
	v_add_f16_e32 v54, v7, v12
	v_fmac_f16_e32 v80, -0.5, v49
	v_fmamk_f16 v49, v41, 0x3aee, v3
	v_sub_f16_e32 v7, v7, v12
	v_add_f16_e32 v76, v78, v82
	v_fma_f16 v60, -0.5, v60, v68
	v_fmac_f16_e32 v3, 0xbaee, v41
	v_fmamk_f16 v41, v6, 0xbaee, v88
	v_fmac_f16_e32 v88, 0x3aee, v6
	v_fmamk_f16 v6, v44, 0xbaee, v71
	;; [unrolled: 2-line block ×6, first 2 shown]
	v_fmac_f16_e32 v89, 0x3aee, v74
	v_pack_b32_f16 v14, v14, v46
	v_pack_b32_f16 v10, v10, v13
	v_mul_f16_e32 v13, 0xbaee, v63
	v_mul_f16_e32 v46, 0.5, v63
	v_pack_b32_f16 v1, v5, v1
	v_mul_f16_e32 v5, 0xbaee, v75
	v_pack_b32_f16 v2, v2, v54
	v_mul_f16_e32 v54, -0.5, v75
	v_pack_b32_f16 v7, v45, v7
	v_pack_b32_f16 v45, v70, v55
	v_mul_f16_e32 v55, 0xbaee, v49
	v_mul_f16_e32 v49, 0.5, v49
	v_sub_f16_e32 v81, v81, v84
	v_sub_f16_e32 v78, v78, v82
	v_fmac_f16_e32 v9, -0.5, v76
	v_fmamk_f16 v56, v0, 0xbaee, v85
	v_fmac_f16_e32 v85, 0x3aee, v0
	v_fmamk_f16 v67, v79, 0xbaee, v80
	v_fmac_f16_e32 v80, 0x3aee, v79
	v_mul_f16_e32 v4, 0xbaee, v3
	v_mul_f16_e32 v74, 0xbaee, v11
	v_pack_b32_f16 v62, v65, v62
	v_pack_b32_f16 v52, v61, v52
	v_mul_f16_e32 v3, -0.5, v3
	v_mul_f16_e32 v61, 0xbaee, v68
	v_mul_f16_e32 v63, 0.5, v68
	v_mul_f16_e32 v65, 0xbaee, v53
	v_mul_f16_e32 v53, -0.5, v53
	v_mul_f16_e32 v68, 0xbaee, v44
	v_mul_f16_e32 v44, 0.5, v44
	v_mul_f16_e32 v11, -0.5, v11
	v_fmamk_f16 v0, v77, 0xbaee, v60
	v_fmac_f16_e32 v60, 0x3aee, v77
	v_fmamk_f16 v58, v91, 0x3aee, v42
	v_fmac_f16_e32 v13, 0.5, v59
	v_fmac_f16_e32 v46, 0x3aee, v59
	v_fmac_f16_e32 v5, -0.5, v89
	v_fmac_f16_e32 v42, 0xbaee, v91
	v_fmac_f16_e32 v54, 0x3aee, v89
	v_fmac_f16_e32 v55, 0.5, v41
	v_fmac_f16_e32 v49, 0x3aee, v41
	v_fmamk_f16 v12, v78, 0xbaee, v47
	v_fmac_f16_e32 v47, 0x3aee, v78
	v_fmamk_f16 v66, v81, 0x3aee, v9
	v_fmac_f16_e32 v9, 0xbaee, v81
	v_fmac_f16_e32 v4, -0.5, v88
	v_fmac_f16_e32 v74, -0.5, v85
	v_fmac_f16_e32 v3, 0x3aee, v88
	v_fmac_f16_e32 v61, 0.5, v67
	v_fmac_f16_e32 v63, 0x3aee, v67
	v_fmac_f16_e32 v65, -0.5, v80
	v_fmac_f16_e32 v53, 0x3aee, v80
	v_fmac_f16_e32 v68, 0.5, v56
	v_fmac_f16_e32 v44, 0x3aee, v56
	v_fmac_f16_e32 v11, 0x3aee, v85
	v_add_f16_e32 v67, v0, v13
	v_sub_f16_e32 v0, v0, v13
	v_add_f16_e32 v13, v60, v5
	v_sub_f16_e32 v5, v60, v5
	;; [unrolled: 2-line block ×5, first 2 shown]
	v_add_f16_e32 v55, v64, v49
	v_add_f16_e32 v41, v69, v4
	v_sub_f16_e32 v59, v71, v74
	v_sub_f16_e32 v49, v64, v49
	v_add_f16_e32 v64, v48, v3
	v_sub_f16_e32 v3, v48, v3
	v_add_f16_e32 v48, v12, v61
	;; [unrolled: 2-line block ×8, first 2 shown]
	v_sub_f16_e32 v8, v8, v11
	v_sub_f16_e32 v4, v69, v4
	v_add_f16_e32 v56, v71, v74
	v_pack_b32_f16 v11, v67, v60
	v_pack_b32_f16 v13, v13, v58
	;; [unrolled: 1-line block ×16, first 2 shown]
	ds_write2_b32 v72, v62, v11 offset1:6
	ds_write2_b32 v72, v13, v52 offset0:12 offset1:18
	ds_write2_b32 v72, v0, v5 offset0:24 offset1:30
	ds_write2_b32 v73, v2, v42 offset1:6
	ds_write2_b32 v73, v41, v7 offset0:12 offset1:18
	ds_write2_b32 v73, v15, v3 offset0:24 offset1:30
	;; [unrolled: 3-line block ×4, first 2 shown]
	v_mul_u32_u24_sdwa v8, v22, v51 dst_sel:DWORD dst_unused:UNUSED_PAD src0_sel:WORD_0 src1_sel:DWORD
	v_mul_u32_u24_sdwa v9, v16, v51 dst_sel:DWORD dst_unused:UNUSED_PAD src0_sel:WORD_0 src1_sel:DWORD
	s_waitcnt lgkmcnt(0)
	s_barrier
	buffer_gl0_inv
	v_lshrrev_b32_e32 v46, 21, v8
	global_load_dwordx4 v[0:3], v23, s[8:9] offset:120
	v_mul_u32_u24_sdwa v4, v40, v17 dst_sel:DWORD dst_unused:UNUSED_PAD src0_sel:WORD_0 src1_sel:DWORD
	v_lshrrev_b32_e32 v49, 21, v9
	v_mov_b32_e32 v50, 0x360
	v_mul_lo_u16 v8, v46, 36
	v_mul_u32_u24_e32 v51, 0x360, v39
	v_lshlrev_b32_e32 v41, 2, v4
	v_mul_lo_u16 v9, v49, 36
	v_mul_u32_u24_sdwa v50, v38, v50 dst_sel:DWORD dst_unused:UNUSED_PAD src0_sel:WORD_0 src1_sel:DWORD
	v_sub_nc_u16 v47, v22, v8
	v_mul_u32_u24_e32 v52, 0x360, v46
	global_load_dwordx4 v[4:7], v41, s[8:9] offset:120
	v_sub_nc_u16 v48, v16, v9
	v_mul_u32_u24_e32 v62, 0x360, v49
	v_mul_u32_u24_sdwa v8, v47, v17 dst_sel:DWORD dst_unused:UNUSED_PAD src0_sel:WORD_0 src1_sel:DWORD
	v_mov_b32_e32 v70, 0x12f7
	v_lshrrev_b16 v71, 3, v16
	v_mul_u32_u24_sdwa v12, v48, v17 dst_sel:DWORD dst_unused:UNUSED_PAD src0_sel:WORD_0 src1_sel:DWORD
	v_lshlrev_b32_sdwa v63, v36, v48 dst_sel:DWORD dst_unused:UNUSED_PAD src0_sel:DWORD src1_sel:WORD_0
	v_lshlrev_b32_e32 v22, 2, v8
	v_mul_u32_u24_e32 v42, 3, v18
	v_lshlrev_b32_e32 v17, 2, v12
	v_add3_u32 v72, 0, v62, v63
	s_clause 0x5
	global_load_dwordx4 v[8:11], v22, s[8:9] offset:120
	global_load_dwordx4 v[12:15], v17, s[8:9] offset:120
	global_load_dword v45, v23, s[8:9] offset:136
	global_load_dword v44, v41, s[8:9] offset:136
	;; [unrolled: 1-line block ×4, first 2 shown]
	v_add_nc_u32_e32 v22, 0xffffffb8, v18
	v_mov_b32_e32 v23, 0
	ds_read2_b32 v[48:49], v26 offset1:144
	v_lshlrev_b32_e32 v42, 2, v42
	v_cndmask_b32_e64 v41, v22, v35, s0
	v_mul_u32_u24_e32 v35, 3, v35
	v_mul_i32_i24_e32 v22, 3, v41
	v_lshlrev_b32_e32 v41, 2, v41
	v_lshlrev_b64 v[38:39], 2, v[22:23]
	v_lshlrev_b32_sdwa v22, v36, v37 dst_sel:DWORD dst_unused:UNUSED_PAD src0_sel:DWORD src1_sel:BYTE_0
	v_lshlrev_b32_sdwa v37, v36, v40 dst_sel:DWORD dst_unused:UNUSED_PAD src0_sel:DWORD src1_sel:WORD_0
	v_lshlrev_b32_sdwa v40, v36, v47 dst_sel:DWORD dst_unused:UNUSED_PAD src0_sel:DWORD src1_sel:WORD_0
	ds_read2_b32 v[46:47], v19 offset0:64 offset1:208
	v_add3_u32 v22, 0, v50, v22
	v_add3_u32 v37, 0, v51, v37
	ds_read2_b32 v[50:51], v27 offset0:64 offset1:208
	v_add3_u32 v40, 0, v52, v40
	ds_read2_b32 v[52:53], v25 offset1:144
	ds_read2_b32 v[54:55], v31 offset0:96 offset1:240
	ds_read2_b32 v[56:57], v30 offset0:32 offset1:176
	ds_read2_b32 v[58:59], v32 offset0:96 offset1:240
	ds_read2_b32 v[60:61], v33 offset0:32 offset1:176
	ds_read_u16 v73, v24 offset:9218
	ds_read2_b32 v[62:63], v28 offset0:64 offset1:208
	ds_read2_b32 v[64:65], v34 offset0:96 offset1:240
	ds_read2_b32 v[66:67], v24 offset1:144
	ds_read2_b32 v[68:69], v29 offset0:32 offset1:176
	s_waitcnt lgkmcnt(12)
	v_lshrrev_b32_e32 v76, 16, v48
	v_lshrrev_b32_e32 v77, 16, v49
	s_waitcnt vmcnt(0) lgkmcnt(0)
	s_barrier
	buffer_gl0_inv
	v_lshrrev_b32_e32 v74, 16, v46
	v_lshrrev_b32_e32 v75, 16, v47
	;; [unrolled: 1-line block ×11, first 2 shown]
	v_mul_f16_sdwa v87, v0, v46 dst_sel:DWORD dst_unused:UNUSED_PAD src0_sel:WORD_1 src1_sel:DWORD
	v_mul_f16_sdwa v89, v1, v48 dst_sel:DWORD dst_unused:UNUSED_PAD src0_sel:WORD_1 src1_sel:DWORD
	;; [unrolled: 1-line block ×5, first 2 shown]
	v_fma_f16 v74, v0, v74, -v87
	v_mul_f16_sdwa v87, v3, v52 dst_sel:DWORD dst_unused:UNUSED_PAD src0_sel:WORD_1 src1_sel:DWORD
	v_fma_f16 v76, v1, v76, -v89
	v_mul_f16_sdwa v89, v2, v78 dst_sel:DWORD dst_unused:UNUSED_PAD src0_sel:WORD_1 src1_sel:DWORD
	v_fma_f16 v78, v2, v78, -v91
	v_mul_f16_sdwa v91, v73, v3 dst_sel:DWORD dst_unused:UNUSED_PAD src0_sel:DWORD src1_sel:WORD_1
	v_fma_f16 v73, v73, v3, -v87
	v_mul_f16_sdwa v87, v75, v4 dst_sel:DWORD dst_unused:UNUSED_PAD src0_sel:DWORD src1_sel:WORD_1
	v_fmac_f16_e32 v90, v1, v48
	v_mul_f16_sdwa v48, v80, v7 dst_sel:DWORD dst_unused:UNUSED_PAD src0_sel:DWORD src1_sel:WORD_1
	v_fmac_f16_e32 v91, v3, v52
	v_mul_f16_sdwa v3, v47, v4 dst_sel:DWORD dst_unused:UNUSED_PAD src0_sel:DWORD src1_sel:WORD_1
	v_mul_f16_sdwa v52, v53, v7 dst_sel:DWORD dst_unused:UNUSED_PAD src0_sel:DWORD src1_sel:WORD_1
	v_fmac_f16_e32 v88, v0, v46
	v_fmac_f16_e32 v89, v2, v50
	v_mul_f16_sdwa v2, v77, v5 dst_sel:DWORD dst_unused:UNUSED_PAD src0_sel:DWORD src1_sel:WORD_1
	v_fmac_f16_e32 v87, v47, v4
	v_mul_f16_sdwa v46, v79, v6 dst_sel:DWORD dst_unused:UNUSED_PAD src0_sel:DWORD src1_sel:WORD_1
	v_mul_f16_sdwa v47, v49, v5 dst_sel:DWORD dst_unused:UNUSED_PAD src0_sel:DWORD src1_sel:WORD_1
	;; [unrolled: 1-line block ×3, first 2 shown]
	v_fmac_f16_e32 v48, v53, v7
	v_fma_f16 v3, v75, v4, -v3
	v_fma_f16 v7, v80, v7, -v52
	v_mul_f16_sdwa v52, v54, v8 dst_sel:DWORD dst_unused:UNUSED_PAD src0_sel:DWORD src1_sel:WORD_1
	v_mul_f16_sdwa v75, v56, v9 dst_sel:DWORD dst_unused:UNUSED_PAD src0_sel:DWORD src1_sel:WORD_1
	v_lshrrev_b32_e32 v1, 16, v61
	v_fmac_f16_e32 v2, v49, v5
	v_fmac_f16_e32 v46, v51, v6
	v_fma_f16 v5, v77, v5, -v47
	v_fma_f16 v6, v79, v6, -v50
	v_mul_f16_sdwa v77, v58, v10 dst_sel:DWORD dst_unused:UNUSED_PAD src0_sel:DWORD src1_sel:WORD_1
	v_mul_f16_sdwa v79, v81, v8 dst_sel:DWORD dst_unused:UNUSED_PAD src0_sel:DWORD src1_sel:WORD_1
	;; [unrolled: 1-line block ×3, first 2 shown]
	v_fma_f16 v52, v81, v8, -v52
	v_mul_f16_sdwa v81, v82, v9 dst_sel:DWORD dst_unused:UNUSED_PAD src0_sel:DWORD src1_sel:WORD_1
	v_fma_f16 v75, v82, v9, -v75
	v_mul_f16_sdwa v82, v83, v10 dst_sel:DWORD dst_unused:UNUSED_PAD src0_sel:DWORD src1_sel:WORD_1
	v_lshrrev_b32_e32 v0, 16, v59
	v_lshrrev_b32_e32 v51, 16, v63
	v_fma_f16 v77, v83, v10, -v77
	v_mul_f16_sdwa v83, v84, v11 dst_sel:DWORD dst_unused:UNUSED_PAD src0_sel:DWORD src1_sel:WORD_1
	v_fma_f16 v80, v84, v11, -v80
	v_mul_f16_sdwa v84, v85, v12 dst_sel:DWORD dst_unused:UNUSED_PAD src0_sel:DWORD src1_sel:WORD_1
	v_fmac_f16_e32 v81, v56, v9
	v_fmac_f16_e32 v82, v58, v10
	v_mul_f16_sdwa v10, v86, v13 dst_sel:DWORD dst_unused:UNUSED_PAD src0_sel:DWORD src1_sel:WORD_1
	v_mul_f16_sdwa v56, v1, v15 dst_sel:DWORD dst_unused:UNUSED_PAD src0_sel:DWORD src1_sel:WORD_1
	v_lshrrev_b32_e32 v49, 16, v62
	v_lshrrev_b32_e32 v4, 16, v65
	v_fmac_f16_e32 v79, v54, v8
	v_fmac_f16_e32 v83, v60, v11
	v_mul_f16_sdwa v11, v55, v12 dst_sel:DWORD dst_unused:UNUSED_PAD src0_sel:DWORD src1_sel:WORD_1
	v_fmac_f16_e32 v84, v55, v12
	v_mul_f16_sdwa v54, v0, v14 dst_sel:DWORD dst_unused:UNUSED_PAD src0_sel:DWORD src1_sel:WORD_1
	v_mul_f16_sdwa v55, v57, v13 dst_sel:DWORD dst_unused:UNUSED_PAD src0_sel:DWORD src1_sel:WORD_1
	v_fmac_f16_e32 v10, v57, v13
	v_mul_f16_sdwa v57, v59, v14 dst_sel:DWORD dst_unused:UNUSED_PAD src0_sel:DWORD src1_sel:WORD_1
	;; [unrolled: 3-line block ×3, first 2 shown]
	v_lshrrev_b32_e32 v53, 16, v64
	v_fmac_f16_e32 v54, v59, v14
	v_mul_f16_sdwa v59, v62, v45 dst_sel:DWORD dst_unused:UNUSED_PAD src0_sel:DWORD src1_sel:WORD_1
	v_mul_f16_sdwa v60, v49, v45 dst_sel:DWORD dst_unused:UNUSED_PAD src0_sel:DWORD src1_sel:WORD_1
	v_fma_f16 v11, v85, v12, -v11
	v_mul_f16_sdwa v12, v63, v44 dst_sel:DWORD dst_unused:UNUSED_PAD src0_sel:DWORD src1_sel:WORD_1
	v_fma_f16 v0, v0, v14, -v57
	v_fma_f16 v1, v1, v15, -v58
	v_mul_f16_sdwa v15, v4, v17 dst_sel:DWORD dst_unused:UNUSED_PAD src0_sel:DWORD src1_sel:WORD_1
	v_mul_f16_sdwa v57, v65, v17 dst_sel:DWORD dst_unused:UNUSED_PAD src0_sel:DWORD src1_sel:WORD_1
	v_fmac_f16_e32 v61, v63, v44
	v_lshrrev_b32_e32 v8, 16, v66
	v_fma_f16 v13, v86, v13, -v55
	v_mul_f16_sdwa v55, v64, v43 dst_sel:DWORD dst_unused:UNUSED_PAD src0_sel:DWORD src1_sel:WORD_1
	v_mul_f16_sdwa v14, v53, v43 dst_sel:DWORD dst_unused:UNUSED_PAD src0_sel:DWORD src1_sel:WORD_1
	v_fma_f16 v49, v49, v45, -v59
	v_fmac_f16_e32 v60, v62, v45
	v_fma_f16 v12, v51, v44, -v12
	v_fmac_f16_e32 v15, v65, v17
	v_fma_f16 v4, v4, v17, -v57
	v_add_f16_e32 v45, v46, v61
	v_add_f16_e32 v57, v10, v56
	;; [unrolled: 1-line block ×3, first 2 shown]
	v_lshrrev_b32_e32 v47, 16, v67
	v_lshrrev_b32_e32 v50, 16, v69
	;; [unrolled: 1-line block ×3, first 2 shown]
	v_fma_f16 v44, v53, v43, -v55
	v_fmac_f16_e32 v14, v64, v43
	v_add_f16_e32 v17, v2, v48
	v_add_f16_e32 v43, v67, v2
	;; [unrolled: 1-line block ×8, first 2 shown]
	v_sub_f16_e32 v86, v90, v91
	v_add_f16_e32 v90, v8, v76
	v_fmac_f16_e32 v87, -0.5, v45
	v_add_f16_e32 v45, v88, v89
	v_fmac_f16_e32 v69, -0.5, v57
	v_add_f16_e32 v57, v74, v78
	v_add_f16_e32 v65, v65, v91
	;; [unrolled: 1-line block ×6, first 2 shown]
	v_fmac_f16_e32 v67, -0.5, v17
	v_add_f16_e32 v17, v76, v73
	v_sub_f16_e32 v76, v76, v73
	v_fmac_f16_e32 v3, -0.5, v51
	v_add_f16_e32 v51, v89, v60
	v_sub_f16_e32 v89, v89, v60
	;; [unrolled: 3-line block ×3, first 2 shown]
	v_sub_f16_e32 v2, v2, v48
	v_fmac_f16_e32 v11, -0.5, v63
	v_add_f16_e32 v63, v47, v5
	v_sub_f16_e32 v46, v46, v61
	v_add_f16_e32 v73, v90, v73
	v_add_f16_e32 v90, v68, v81
	;; [unrolled: 1-line block ×8, first 2 shown]
	v_fmac_f16_e32 v47, -0.5, v91
	v_add_f16_e32 v91, v50, v13
	v_add_f16_e32 v53, v53, v61
	;; [unrolled: 1-line block ×3, first 2 shown]
	v_sub_f16_e32 v5, v5, v7
	v_sub_f16_e32 v6, v6, v12
	v_fmac_f16_e32 v8, -0.5, v17
	v_add_f16_e32 v17, v81, v83
	v_fmac_f16_e32 v74, -0.5, v59
	v_add_f16_e32 v59, v82, v14
	v_sub_f16_e32 v82, v82, v14
	v_add_f16_e32 v7, v63, v7
	v_add_f16_e32 v63, v77, v44
	v_sub_f16_e32 v77, v77, v44
	v_sub_f16_e32 v10, v10, v56
	;; [unrolled: 1-line block ×5, first 2 shown]
	v_add_f16_e32 v12, v55, v12
	v_add_f16_e32 v55, v90, v83
	;; [unrolled: 1-line block ×7, first 2 shown]
	v_fmac_f16_e32 v50, -0.5, v61
	v_add_f16_e32 v15, v62, v15
	v_add_f16_e32 v4, v64, v4
	v_fmac_f16_e32 v88, -0.5, v51
	v_add_f16_e32 v51, v75, v80
	v_fmac_f16_e32 v79, -0.5, v59
	v_fmac_f16_e32 v52, -0.5, v63
	v_fma_f16 v17, -0.5, v17, v68
	v_fmamk_f16 v59, v89, 0x3aee, v74
	v_fmac_f16_e32 v74, 0xbaee, v89
	v_add_f16_e32 v68, v55, v14
	v_sub_f16_e32 v14, v55, v14
	v_add_f16_e32 v55, v60, v44
	v_sub_f16_e32 v44, v60, v44
	v_fmamk_f16 v60, v10, 0x3aee, v50
	v_fmac_f16_e32 v50, 0xbaee, v10
	v_add_f16_e32 v10, v48, v15
	v_sub_f16_e32 v15, v48, v15
	v_add_f16_e32 v48, v1, v4
	v_sub_f16_e32 v1, v1, v4
	v_fmamk_f16 v63, v2, 0x3aee, v47
	v_fmac_f16_e32 v47, 0xbaee, v2
	v_add_f16_e32 v2, v43, v53
	v_sub_f16_e32 v43, v43, v53
	v_add_f16_e32 v53, v7, v12
	v_fmamk_f16 v56, v5, 0xbaee, v67
	v_fmac_f16_e32 v67, 0x3aee, v5
	v_fmamk_f16 v5, v46, 0x3aee, v3
	v_sub_f16_e32 v7, v7, v12
	v_fmac_f16_e32 v3, 0xbaee, v46
	v_add_f16_e32 v61, v65, v45
	v_sub_f16_e32 v45, v65, v45
	v_add_f16_e32 v62, v73, v49
	v_sub_f16_e32 v49, v73, v49
	v_fmac_f16_e32 v9, -0.5, v51
	v_fma_f16 v51, -0.5, v85, v66
	v_fmamk_f16 v46, v6, 0xbaee, v87
	v_fmac_f16_e32 v87, 0x3aee, v6
	v_fmamk_f16 v6, v13, 0xbaee, v69
	v_fmac_f16_e32 v69, 0x3aee, v13
	;; [unrolled: 2-line block ×5, first 2 shown]
	v_pack_b32_f16 v14, v14, v44
	v_pack_b32_f16 v10, v10, v48
	v_mul_f16_e32 v44, 0xbaee, v59
	v_mul_f16_e32 v48, 0.5, v59
	v_pack_b32_f16 v1, v15, v1
	v_mul_f16_e32 v15, 0xbaee, v74
	v_pack_b32_f16 v2, v2, v53
	v_mul_f16_e32 v53, -0.5, v74
	v_pack_b32_f16 v7, v43, v7
	v_pack_b32_f16 v43, v68, v55
	v_mul_f16_e32 v55, 0xbaee, v5
	v_mul_f16_e32 v5, 0.5, v5
	v_pack_b32_f16 v45, v45, v49
	v_mul_f16_e32 v49, 0xbaee, v3
	v_mul_f16_e32 v3, -0.5, v3
	v_sub_f16_e32 v81, v81, v83
	v_sub_f16_e32 v75, v75, v80
	v_fmamk_f16 v54, v0, 0xbaee, v84
	v_fmac_f16_e32 v84, 0x3aee, v0
	v_fmamk_f16 v0, v76, 0xbaee, v51
	v_fmac_f16_e32 v51, 0x3aee, v76
	v_fmamk_f16 v57, v86, 0x3aee, v8
	v_fmamk_f16 v65, v77, 0xbaee, v79
	v_fmac_f16_e32 v79, 0x3aee, v77
	v_pack_b32_f16 v4, v61, v62
	v_mul_f16_e32 v59, 0xbaee, v66
	v_mul_f16_e32 v61, 0.5, v66
	v_mul_f16_e32 v62, 0xbaee, v52
	v_mul_f16_e32 v52, -0.5, v52
	v_mul_f16_e32 v66, 0xbaee, v11
	v_mul_f16_e32 v68, 0xbaee, v13
	v_mul_f16_e32 v13, 0.5, v13
	v_mul_f16_e32 v11, -0.5, v11
	v_fmac_f16_e32 v44, 0.5, v58
	v_fmac_f16_e32 v48, 0x3aee, v58
	v_fmac_f16_e32 v15, -0.5, v88
	v_fmac_f16_e32 v8, 0xbaee, v86
	v_fmac_f16_e32 v53, 0x3aee, v88
	v_fmac_f16_e32 v55, 0.5, v46
	v_fmac_f16_e32 v5, 0x3aee, v46
	v_fmac_f16_e32 v49, -0.5, v87
	v_fmac_f16_e32 v3, 0x3aee, v87
	v_fmamk_f16 v12, v75, 0xbaee, v17
	v_fmac_f16_e32 v17, 0x3aee, v75
	v_fmamk_f16 v64, v81, 0x3aee, v9
	v_fmac_f16_e32 v9, 0xbaee, v81
	v_fmac_f16_e32 v59, 0.5, v65
	v_fmac_f16_e32 v61, 0x3aee, v65
	v_fmac_f16_e32 v62, -0.5, v79
	v_fmac_f16_e32 v52, 0x3aee, v79
	v_fmac_f16_e32 v66, -0.5, v84
	v_fmac_f16_e32 v68, 0.5, v54
	v_fmac_f16_e32 v13, 0x3aee, v54
	v_fmac_f16_e32 v11, 0x3aee, v84
	v_add_f16_e32 v65, v0, v44
	v_sub_f16_e32 v0, v0, v44
	v_add_f16_e32 v44, v51, v15
	v_sub_f16_e32 v15, v51, v15
	;; [unrolled: 2-line block ×5, first 2 shown]
	v_add_f16_e32 v56, v63, v5
	v_add_f16_e32 v46, v67, v49
	v_sub_f16_e32 v5, v63, v5
	v_add_f16_e32 v63, v47, v3
	v_sub_f16_e32 v49, v67, v49
	;; [unrolled: 2-line block ×3, first 2 shown]
	v_sub_f16_e32 v3, v47, v3
	v_add_f16_e32 v47, v12, v59
	v_sub_f16_e32 v12, v12, v59
	v_add_f16_e32 v59, v17, v62
	;; [unrolled: 2-line block ×7, first 2 shown]
	v_sub_f16_e32 v11, v50, v11
	v_pack_b32_f16 v50, v65, v51
	v_pack_b32_f16 v44, v44, v57
	;; [unrolled: 1-line block ×16, first 2 shown]
	ds_write2_b32 v22, v4, v50 offset1:36
	ds_write2_b32 v22, v44, v45 offset0:72 offset1:108
	ds_write2_b32 v22, v0, v8 offset0:144 offset1:180
	ds_write2_b32 v37, v2, v15 offset1:36
	ds_write2_b32 v37, v46, v7 offset0:72 offset1:108
	ds_write2_b32 v37, v5, v3 offset0:144 offset1:180
	;; [unrolled: 3-line block ×4, first 2 shown]
	v_mul_u32_u24_sdwa v2, v71, v70 dst_sel:DWORD dst_unused:UNUSED_PAD src0_sel:WORD_0 src1_sel:DWORD
	v_add_nc_u16 v7, v18, 0x240
	v_add_nc_u16 v8, v18, 0x2d0
	s_waitcnt lgkmcnt(0)
	s_barrier
	v_lshrrev_b32_e32 v6, 17, v2
	v_lshrrev_b16 v9, 3, v7
	buffer_gl0_inv
	global_load_dwordx3 v[3:5], v42, s[8:9] offset:840
	v_add_co_u32 v0, s0, s8, v38
	v_mul_lo_u16 v6, 0xd8, v6
	v_mul_u32_u24_sdwa v9, v9, v70 dst_sel:DWORD dst_unused:UNUSED_PAD src0_sel:WORD_0 src1_sel:DWORD
	v_add_co_ci_u32_e64 v1, s0, s9, v39, s0
	v_mov_b32_e32 v11, 3
	v_sub_nc_u16 v6, v16, v6
	v_lshrrev_b32_e32 v38, 17, v9
	s_clause 0x1
	global_load_dwordx3 v[0:2], v[0:1], off offset:840
	global_load_dwordx3 v[15:17], v42, s[8:9] offset:1704
	v_cmp_lt_u32_e64 s0, 0x47, v18
	v_and_b32_e32 v22, 0xffff, v6
	v_lshrrev_b16 v6, 3, v8
	v_lshlrev_b32_e32 v65, 2, v35
	v_mul_u32_u24_e32 v35, 0xd80, v38
	v_cndmask_b32_e64 v40, 0, 0xd80, s0
	v_mul_u32_u24_e32 v10, 3, v22
	v_mul_u32_u24_sdwa v6, v6, v70 dst_sel:DWORD dst_unused:UNUSED_PAD src0_sel:WORD_0 src1_sel:DWORD
	v_add_nc_u32_e32 v62, 0x680, v24
	v_lshl_add_u32 v22, v22, 2, 0
	v_add3_u32 v66, 0, v40, v41
	v_lshlrev_b32_e32 v9, 2, v10
	v_lshrrev_b32_e32 v6, 17, v6
	v_mul_lo_u16 v10, 0xd8, v38
	v_add_nc_u32_e32 v63, 0xe80, v24
	v_add_nc_u32_e32 v68, 0x680, v66
	global_load_dwordx3 v[12:14], v9, s[8:9] offset:840
	v_mul_lo_u16 v6, 0xd8, v6
	v_sub_nc_u16 v39, v7, v10
	v_add_nc_u32_e32 v64, 0x1500, v24
	v_add_nc_u32_e32 v70, 0x1b00, v22
	;; [unrolled: 1-line block ×3, first 2 shown]
	v_sub_nc_u16 v6, v8, v6
	v_mul_u32_u24_sdwa v7, v39, v11 dst_sel:DWORD dst_unused:UNUSED_PAD src0_sel:WORD_0 src1_sel:DWORD
	v_lshlrev_b32_sdwa v36, v36, v39 dst_sel:DWORD dst_unused:UNUSED_PAD src0_sel:DWORD src1_sel:WORD_0
	v_and_b32_e32 v37, 0xffff, v6
	v_lshlrev_b32_e32 v6, 2, v7
	v_add3_u32 v69, 0, v35, v36
	v_mul_u32_u24_e32 v7, 3, v37
	global_load_dwordx3 v[9:11], v6, s[8:9] offset:840
	v_lshl_add_u32 v50, v37, 2, 0
	v_add_nc_u32_e32 v71, 0x680, v69
	v_lshlrev_b32_e32 v6, 2, v7
	v_add_nc_u32_e32 v72, 0x2800, v50
	v_add_nc_u32_e32 v73, 0x2f00, v50
	global_load_dwordx3 v[6:8], v6, s[8:9] offset:840
	v_add_co_u32 v42, s0, s8, v42
	v_add_co_ci_u32_e64 v43, null, s9, 0, s0
	v_add_co_u32 v40, s0, 0x800, v42
	v_add_co_ci_u32_e64 v41, s0, 0, v43, s0
	ds_read2_b32 v[35:36], v31 offset0:96 offset1:240
	ds_read2_b32 v[37:38], v27 offset0:64 offset1:208
	;; [unrolled: 1-line block ×3, first 2 shown]
	ds_read2_b32 v[44:45], v26 offset1:144
	ds_read2_b32 v[46:47], v32 offset0:96 offset1:240
	ds_read2_b32 v[48:49], v28 offset0:64 offset1:208
	;; [unrolled: 1-line block ×3, first 2 shown]
	ds_read2_b32 v[52:53], v25 offset1:144
	ds_read2_b32 v[54:55], v34 offset0:96 offset1:240
	ds_read2_b32 v[56:57], v24 offset1:144
	ds_read2_b32 v[58:59], v29 offset0:32 offset1:176
	ds_read2_b32 v[60:61], v19 offset0:64 offset1:208
	v_add_co_u32 v39, s0, s8, v65
	v_add_co_ci_u32_e64 v67, null, s9, 0, s0
	s_waitcnt vmcnt(0) lgkmcnt(0)
	s_barrier
	buffer_gl0_inv
	v_lshrrev_b32_e32 v86, 16, v50
	v_lshrrev_b32_e32 v77, 16, v35
	v_lshrrev_b32_e32 v78, 16, v37
	v_lshrrev_b32_e32 v79, 16, v42
	v_lshrrev_b32_e32 v74, 16, v36
	v_lshrrev_b32_e32 v75, 16, v38
	v_lshrrev_b32_e32 v76, 16, v43
	v_lshrrev_b32_e32 v80, 16, v44
	v_lshrrev_b32_e32 v81, 16, v46
	v_lshrrev_b32_e32 v82, 16, v48
	v_lshrrev_b32_e32 v83, 16, v45
	v_lshrrev_b32_e32 v84, 16, v47
	v_lshrrev_b32_e32 v85, 16, v49
	v_lshrrev_b32_e32 v88, 16, v52
	v_mul_f16_sdwa v87, v3, v35 dst_sel:DWORD dst_unused:UNUSED_PAD src0_sel:WORD_1 src1_sel:DWORD
	v_mul_f16_sdwa v89, v4, v37 dst_sel:DWORD dst_unused:UNUSED_PAD src0_sel:WORD_1 src1_sel:DWORD
	;; [unrolled: 1-line block ×4, first 2 shown]
	v_fma_f16 v77, v3, v77, -v87
	v_mul_f16_sdwa v87, v4, v78 dst_sel:DWORD dst_unused:UNUSED_PAD src0_sel:WORD_1 src1_sel:DWORD
	v_fma_f16 v78, v4, v78, -v89
	v_mul_f16_sdwa v89, v5, v79 dst_sel:DWORD dst_unused:UNUSED_PAD src0_sel:WORD_1 src1_sel:DWORD
	v_fma_f16 v79, v5, v79, -v91
	v_mul_f16_sdwa v91, v74, v0 dst_sel:DWORD dst_unused:UNUSED_PAD src0_sel:DWORD src1_sel:WORD_1
	v_fmac_f16_e32 v87, v4, v37
	v_mul_f16_sdwa v4, v75, v1 dst_sel:DWORD dst_unused:UNUSED_PAD src0_sel:DWORD src1_sel:WORD_1
	v_fmac_f16_e32 v89, v5, v42
	v_mul_f16_sdwa v5, v36, v0 dst_sel:DWORD dst_unused:UNUSED_PAD src0_sel:DWORD src1_sel:WORD_1
	v_mul_f16_sdwa v37, v38, v1 dst_sel:DWORD dst_unused:UNUSED_PAD src0_sel:DWORD src1_sel:WORD_1
	v_fmac_f16_e32 v90, v3, v35
	v_fmac_f16_e32 v91, v36, v0
	v_mul_f16_sdwa v35, v76, v2 dst_sel:DWORD dst_unused:UNUSED_PAD src0_sel:DWORD src1_sel:WORD_1
	v_fmac_f16_e32 v4, v38, v1
	v_mul_f16_sdwa v42, v43, v2 dst_sel:DWORD dst_unused:UNUSED_PAD src0_sel:DWORD src1_sel:WORD_1
	v_fma_f16 v0, v74, v0, -v5
	v_fma_f16 v1, v75, v1, -v37
	v_mul_f16_sdwa v37, v44, v15 dst_sel:DWORD dst_unused:UNUSED_PAD src0_sel:DWORD src1_sel:WORD_1
	v_mul_f16_sdwa v74, v46, v16 dst_sel:DWORD dst_unused:UNUSED_PAD src0_sel:DWORD src1_sel:WORD_1
	v_fmac_f16_e32 v35, v43, v2
	v_fma_f16 v2, v76, v2, -v42
	v_mul_f16_sdwa v75, v48, v17 dst_sel:DWORD dst_unused:UNUSED_PAD src0_sel:DWORD src1_sel:WORD_1
	v_mul_f16_sdwa v76, v80, v15 dst_sel:DWORD dst_unused:UNUSED_PAD src0_sel:DWORD src1_sel:WORD_1
	v_fma_f16 v37, v80, v15, -v37
	v_mul_f16_sdwa v80, v81, v16 dst_sel:DWORD dst_unused:UNUSED_PAD src0_sel:DWORD src1_sel:WORD_1
	v_fma_f16 v74, v81, v16, -v74
	v_mul_f16_sdwa v81, v82, v17 dst_sel:DWORD dst_unused:UNUSED_PAD src0_sel:DWORD src1_sel:WORD_1
	v_lshrrev_b32_e32 v3, 16, v54
	v_fma_f16 v75, v82, v17, -v75
	v_mul_f16_sdwa v82, v83, v12 dst_sel:DWORD dst_unused:UNUSED_PAD src0_sel:DWORD src1_sel:WORD_1
	v_fmac_f16_e32 v76, v44, v15
	v_fmac_f16_e32 v80, v46, v16
	v_fmac_f16_e32 v81, v48, v17
	v_mul_f16_sdwa v16, v84, v13 dst_sel:DWORD dst_unused:UNUSED_PAD src0_sel:DWORD src1_sel:WORD_1
	v_mul_f16_sdwa v17, v45, v12 dst_sel:DWORD dst_unused:UNUSED_PAD src0_sel:DWORD src1_sel:WORD_1
	;; [unrolled: 1-line block ×5, first 2 shown]
	v_lshrrev_b32_e32 v36, 16, v51
	v_lshrrev_b32_e32 v38, 16, v53
	;; [unrolled: 1-line block ×3, first 2 shown]
	v_fmac_f16_e32 v82, v45, v12
	v_fmac_f16_e32 v16, v47, v13
	;; [unrolled: 1-line block ×3, first 2 shown]
	v_fma_f16 v12, v83, v12, -v17
	v_mul_f16_sdwa v17, v50, v9 dst_sel:DWORD dst_unused:UNUSED_PAD src0_sel:DWORD src1_sel:WORD_1
	v_fma_f16 v13, v84, v13, -v46
	v_mul_f16_sdwa v46, v52, v10 dst_sel:DWORD dst_unused:UNUSED_PAD src0_sel:DWORD src1_sel:WORD_1
	;; [unrolled: 2-line block ×3, first 2 shown]
	v_mul_f16_sdwa v83, v54, v11 dst_sel:DWORD dst_unused:UNUSED_PAD src0_sel:DWORD src1_sel:WORD_1
	v_mul_f16_sdwa v84, v88, v10 dst_sel:DWORD dst_unused:UNUSED_PAD src0_sel:DWORD src1_sel:WORD_1
	;; [unrolled: 1-line block ×3, first 2 shown]
	v_fma_f16 v17, v86, v9, -v17
	v_mul_f16_sdwa v86, v36, v6 dst_sel:DWORD dst_unused:UNUSED_PAD src0_sel:DWORD src1_sel:WORD_1
	v_fma_f16 v46, v88, v10, -v46
	v_mul_f16_sdwa v88, v38, v7 dst_sel:DWORD dst_unused:UNUSED_PAD src0_sel:DWORD src1_sel:WORD_1
	;; [unrolled: 2-line block ×3, first 2 shown]
	v_fmac_f16_e32 v48, v50, v9
	v_fmac_f16_e32 v84, v52, v10
	;; [unrolled: 1-line block ×3, first 2 shown]
	v_mul_f16_sdwa v9, v43, v8 dst_sel:DWORD dst_unused:UNUSED_PAD src0_sel:DWORD src1_sel:WORD_1
	v_mul_f16_sdwa v10, v53, v7 dst_sel:DWORD dst_unused:UNUSED_PAD src0_sel:DWORD src1_sel:WORD_1
	v_mul_f16_sdwa v11, v55, v8 dst_sel:DWORD dst_unused:UNUSED_PAD src0_sel:DWORD src1_sel:WORD_1
	v_lshrrev_b32_e32 v5, 16, v56
	v_lshrrev_b32_e32 v42, 16, v57
	;; [unrolled: 1-line block ×6, first 2 shown]
	v_fmac_f16_e32 v86, v51, v6
	v_fmac_f16_e32 v88, v53, v7
	v_fmac_f16_e32 v9, v55, v8
	v_fma_f16 v6, v36, v6, -v83
	v_fma_f16 v7, v38, v7, -v10
	;; [unrolled: 1-line block ×3, first 2 shown]
	v_sub_f16_e32 v10, v56, v87
	v_sub_f16_e32 v4, v57, v4
	;; [unrolled: 1-line block ×24, first 2 shown]
	v_fma_f16 v56, v56, 2.0, -v10
	v_fma_f16 v74, v90, 2.0, -v43
	;; [unrolled: 1-line block ×3, first 2 shown]
	v_add_f16_e32 v50, v10, v50
	v_sub_f16_e32 v43, v51, v43
	v_fma_f16 v5, v5, 2.0, -v51
	v_fma_f16 v77, v91, 2.0, -v35
	;; [unrolled: 1-line block ×3, first 2 shown]
	v_add_f16_e32 v2, v4, v2
	v_sub_f16_e32 v35, v1, v35
	v_fma_f16 v76, v76, 2.0, -v52
	v_fma_f16 v37, v37, 2.0, -v53
	v_add_f16_e32 v53, v11, v53
	v_sub_f16_e32 v52, v54, v52
	v_fma_f16 v78, v82, 2.0, -v44
	v_fma_f16 v12, v12, 2.0, -v14
	v_add_f16_e32 v14, v16, v14
	v_sub_f16_e32 v44, v13, v44
	v_fma_f16 v48, v48, 2.0, -v55
	v_sub_f16_e32 v55, v46, v55
	v_fma_f16 v57, v57, 2.0, -v4
	v_fma_f16 v42, v42, 2.0, -v1
	;; [unrolled: 1-line block ×4, first 2 shown]
	v_add_f16_e32 v8, v38, v8
	v_sub_f16_e32 v9, v7, v9
	v_fma_f16 v58, v58, 2.0, -v11
	v_fma_f16 v15, v15, 2.0, -v54
	;; [unrolled: 1-line block ×7, first 2 shown]
	v_add_f16_e32 v3, v36, v3
	v_fma_f16 v47, v47, 2.0, -v46
	v_fma_f16 v49, v49, 2.0, -v7
	;; [unrolled: 1-line block ×3, first 2 shown]
	v_pack_b32_f16 v50, v50, v43
	v_fma_f16 v43, v51, 2.0, -v43
	v_fma_f16 v4, v4, 2.0, -v2
	;; [unrolled: 1-line block ×3, first 2 shown]
	v_pack_b32_f16 v2, v2, v35
	v_fma_f16 v35, v54, 2.0, -v52
	v_pack_b32_f16 v51, v53, v52
	v_fma_f16 v16, v16, 2.0, -v14
	v_fma_f16 v13, v13, 2.0, -v44
	v_pack_b32_f16 v14, v14, v44
	v_fma_f16 v44, v46, 2.0, -v55
	v_sub_f16_e32 v46, v56, v74
	v_sub_f16_e32 v52, v5, v75
	v_fma_f16 v38, v38, 2.0, -v8
	v_fma_f16 v7, v7, 2.0, -v9
	v_pack_b32_f16 v8, v8, v9
	v_sub_f16_e32 v9, v57, v77
	v_sub_f16_e32 v0, v42, v0
	v_fma_f16 v11, v11, 2.0, -v53
	v_sub_f16_e32 v53, v58, v76
	v_sub_f16_e32 v37, v15, v37
	v_fma_f16 v36, v36, 2.0, -v3
	v_pack_b32_f16 v3, v3, v55
	v_sub_f16_e32 v54, v59, v78
	v_sub_f16_e32 v12, v45, v12
	;; [unrolled: 1-line block ×6, first 2 shown]
	v_fma_f16 v56, v56, 2.0, -v46
	v_fma_f16 v5, v5, 2.0, -v52
	v_pack_b32_f16 v1, v4, v1
	v_fma_f16 v4, v57, 2.0, -v9
	v_fma_f16 v42, v42, 2.0, -v0
	v_pack_b32_f16 v0, v9, v0
	v_pack_b32_f16 v9, v11, v35
	v_fma_f16 v11, v58, 2.0, -v53
	v_fma_f16 v15, v15, 2.0, -v37
	v_pack_b32_f16 v46, v46, v52
	v_pack_b32_f16 v10, v10, v43
	;; [unrolled: 1-line block ×4, first 2 shown]
	v_fma_f16 v16, v59, 2.0, -v54
	v_fma_f16 v37, v45, 2.0, -v12
	v_pack_b32_f16 v36, v36, v44
	v_fma_f16 v43, v60, 2.0, -v48
	v_fma_f16 v44, v47, 2.0, -v17
	v_pack_b32_f16 v7, v38, v7
	;; [unrolled: 3-line block ×3, first 2 shown]
	v_pack_b32_f16 v4, v4, v42
	v_pack_b32_f16 v11, v11, v15
	;; [unrolled: 1-line block ×5, first 2 shown]
	ds_write2_b32 v62, v46, v50 offset0:16 offset1:232
	v_pack_b32_f16 v15, v16, v37
	v_pack_b32_f16 v16, v43, v44
	;; [unrolled: 1-line block ×3, first 2 shown]
	ds_write2_b32 v24, v5, v10 offset1:216
	ds_write2_b32 v66, v4, v1 offset1:216
	ds_write2_b32 v68, v0, v2 offset0:16 offset1:232
	ds_write2_b32 v63, v11, v9 offset0:8 offset1:224
	;; [unrolled: 1-line block ×3, first 2 shown]
	ds_write2_b32 v70, v15, v13 offset1:216
	ds_write2_b32 v22, v12, v14 offset0:16 offset1:232
	ds_write2_b32 v69, v16, v36 offset1:216
	ds_write2_b32 v71, v17, v3 offset0:16 offset1:232
	ds_write2_b32 v72, v37, v7 offset0:32 offset1:248
	;; [unrolled: 1-line block ×3, first 2 shown]
	v_add_co_u32 v0, s0, 0x800, v39
	v_add_co_ci_u32_e64 v1, s0, 0, v67, s0
	v_add_co_u32 v6, s0, 0x1000, v39
	v_add_nc_u32_e32 v11, 0x1440, v65
	v_add_co_ci_u32_e64 v7, s0, 0, v67, s0
	v_add_co_u32 v9, s0, 0x1800, v39
	v_add_co_ci_u32_e64 v10, s0, 0, v67, s0
	v_add_co_u32 v12, s0, s8, v11
	v_add_co_ci_u32_e64 v13, null, s9, 0, s0
	v_add_nc_u32_e32 v14, 0x1b00, v65
	v_add_co_u32 v12, s0, 0x800, v12
	v_add_co_ci_u32_e64 v13, s0, 0, v13, s0
	v_add_co_u32 v15, s0, s8, v14
	s_waitcnt lgkmcnt(0)
	s_barrier
	buffer_gl0_inv
	global_load_dwordx3 v[3:5], v[40:41], off offset:1384
	v_add_co_ci_u32_e64 v16, null, s9, 0, s0
	s_clause 0x1
	global_load_dwordx3 v[0:2], v[0:1], off offset:1384
	global_load_dwordx3 v[6:8], v[6:7], off offset:1064
	v_add_co_u32 v15, s0, 0x800, v15
	v_add_co_ci_u32_e64 v16, s0, 0, v16, s0
	s_clause 0x2
	global_load_dwordx3 v[9:11], v[9:10], off offset:744
	global_load_dwordx3 v[12:14], v[12:13], off offset:1384
	global_load_dwordx3 v[15:17], v[15:16], off offset:1384
	ds_read2_b32 v[35:36], v31 offset0:96 offset1:240
	ds_read2_b32 v[37:38], v27 offset0:64 offset1:208
	;; [unrolled: 1-line block ×3, first 2 shown]
	ds_read2_b32 v[41:42], v26 offset1:144
	ds_read2_b32 v[43:44], v32 offset0:96 offset1:240
	ds_read2_b32 v[45:46], v28 offset0:64 offset1:208
	;; [unrolled: 1-line block ×3, first 2 shown]
	ds_read2_b32 v[49:50], v25 offset1:144
	ds_read2_b32 v[51:52], v34 offset0:96 offset1:240
	ds_read2_b32 v[53:54], v24 offset1:144
	ds_read2_b32 v[55:56], v29 offset0:32 offset1:176
	ds_read2_b32 v[57:58], v19 offset0:64 offset1:208
	s_waitcnt vmcnt(0) lgkmcnt(0)
	s_barrier
	buffer_gl0_inv
	v_lshrrev_b32_e32 v22, 16, v36
	v_lshrrev_b32_e32 v62, 16, v37
	;; [unrolled: 1-line block ×24, first 2 shown]
	v_mul_f16_sdwa v82, v3, v35 dst_sel:DWORD dst_unused:UNUSED_PAD src0_sel:WORD_1 src1_sel:DWORD
	v_mul_f16_sdwa v85, v5, v39 dst_sel:DWORD dst_unused:UNUSED_PAD src0_sel:WORD_1 src1_sel:DWORD
	;; [unrolled: 1-line block ×6, first 2 shown]
	v_mul_f16_sdwa v88, v22, v0 dst_sel:DWORD dst_unused:UNUSED_PAD src0_sel:DWORD src1_sel:WORD_1
	v_mul_f16_sdwa v89, v59, v1 dst_sel:DWORD dst_unused:UNUSED_PAD src0_sel:DWORD src1_sel:WORD_1
	;; [unrolled: 1-line block ×4, first 2 shown]
	v_fma_f16 v61, v3, v61, -v82
	v_mul_f16_sdwa v82, v38, v1 dst_sel:DWORD dst_unused:UNUSED_PAD src0_sel:DWORD src1_sel:WORD_1
	v_fma_f16 v63, v5, v63, -v85
	v_mul_f16_sdwa v85, v41, v6 dst_sel:DWORD dst_unused:UNUSED_PAD src0_sel:DWORD src1_sel:WORD_1
	v_fma_f16 v62, v4, v62, -v83
	v_fmac_f16_e32 v86, v4, v37
	v_mul_f16_sdwa v4, v64, v6 dst_sel:DWORD dst_unused:UNUSED_PAD src0_sel:DWORD src1_sel:WORD_1
	v_mul_f16_sdwa v83, v40, v2 dst_sel:DWORD dst_unused:UNUSED_PAD src0_sel:DWORD src1_sel:WORD_1
	v_fmac_f16_e32 v84, v3, v35
	v_fmac_f16_e32 v87, v5, v39
	v_mul_f16_sdwa v3, v43, v7 dst_sel:DWORD dst_unused:UNUSED_PAD src0_sel:DWORD src1_sel:WORD_1
	v_mul_f16_sdwa v5, v45, v8 dst_sel:DWORD dst_unused:UNUSED_PAD src0_sel:DWORD src1_sel:WORD_1
	v_fmac_f16_e32 v88, v36, v0
	v_mul_f16_sdwa v35, v65, v7 dst_sel:DWORD dst_unused:UNUSED_PAD src0_sel:DWORD src1_sel:WORD_1
	v_mul_f16_sdwa v36, v66, v8 dst_sel:DWORD dst_unused:UNUSED_PAD src0_sel:DWORD src1_sel:WORD_1
	;; [unrolled: 1-line block ×3, first 2 shown]
	v_fmac_f16_e32 v89, v38, v1
	v_mul_f16_sdwa v38, v68, v10 dst_sel:DWORD dst_unused:UNUSED_PAD src0_sel:DWORD src1_sel:WORD_1
	v_fmac_f16_e32 v91, v40, v2
	v_mul_f16_sdwa v39, v42, v9 dst_sel:DWORD dst_unused:UNUSED_PAD src0_sel:DWORD src1_sel:WORD_1
	v_mul_f16_sdwa v40, v69, v11 dst_sel:DWORD dst_unused:UNUSED_PAD src0_sel:DWORD src1_sel:WORD_1
	v_fma_f16 v0, v22, v0, -v90
	v_mul_f16_sdwa v22, v44, v10 dst_sel:DWORD dst_unused:UNUSED_PAD src0_sel:DWORD src1_sel:WORD_1
	v_fma_f16 v1, v59, v1, -v82
	;; [unrolled: 2-line block ×3, first 2 shown]
	v_mul_f16_sdwa v85, v71, v13 dst_sel:DWORD dst_unused:UNUSED_PAD src0_sel:DWORD src1_sel:WORD_1
	v_fmac_f16_e32 v4, v41, v6
	v_mul_f16_sdwa v6, v74, v16 dst_sel:DWORD dst_unused:UNUSED_PAD src0_sel:DWORD src1_sel:WORD_1
	v_fma_f16 v2, v60, v2, -v83
	v_mul_f16_sdwa v60, v47, v12 dst_sel:DWORD dst_unused:UNUSED_PAD src0_sel:DWORD src1_sel:WORD_1
	v_mul_f16_sdwa v82, v49, v13 dst_sel:DWORD dst_unused:UNUSED_PAD src0_sel:DWORD src1_sel:WORD_1
	;; [unrolled: 1-line block ×4, first 2 shown]
	v_fma_f16 v3, v65, v7, -v3
	v_mul_f16_sdwa v65, v72, v14 dst_sel:DWORD dst_unused:UNUSED_PAD src0_sel:DWORD src1_sel:WORD_1
	v_fma_f16 v5, v66, v8, -v5
	v_mul_f16_sdwa v66, v73, v15 dst_sel:DWORD dst_unused:UNUSED_PAD src0_sel:DWORD src1_sel:WORD_1
	v_fmac_f16_e32 v35, v43, v7
	v_fmac_f16_e32 v36, v45, v8
	v_mul_f16_sdwa v7, v48, v15 dst_sel:DWORD dst_unused:UNUSED_PAD src0_sel:DWORD src1_sel:WORD_1
	v_mul_f16_sdwa v8, v75, v17 dst_sel:DWORD dst_unused:UNUSED_PAD src0_sel:DWORD src1_sel:WORD_1
	v_fmac_f16_e32 v37, v42, v9
	v_mul_f16_sdwa v41, v50, v16 dst_sel:DWORD dst_unused:UNUSED_PAD src0_sel:DWORD src1_sel:WORD_1
	v_mul_f16_sdwa v42, v52, v17 dst_sel:DWORD dst_unused:UNUSED_PAD src0_sel:DWORD src1_sel:WORD_1
	v_fmac_f16_e32 v38, v44, v10
	v_fmac_f16_e32 v40, v46, v11
	v_fma_f16 v9, v67, v9, -v39
	v_fma_f16 v10, v68, v10, -v22
	;; [unrolled: 1-line block ×3, first 2 shown]
	v_fmac_f16_e32 v85, v49, v13
	v_fmac_f16_e32 v6, v50, v16
	v_fma_f16 v22, v70, v12, -v60
	v_fma_f16 v39, v71, v13, -v82
	;; [unrolled: 1-line block ×3, first 2 shown]
	v_fmac_f16_e32 v83, v47, v12
	v_fmac_f16_e32 v65, v51, v14
	;; [unrolled: 1-line block ×4, first 2 shown]
	v_fma_f16 v7, v73, v15, -v7
	v_fma_f16 v12, v74, v16, -v41
	;; [unrolled: 1-line block ×3, first 2 shown]
	v_sub_f16_e32 v14, v53, v86
	v_sub_f16_e32 v15, v54, v89
	;; [unrolled: 1-line block ×24, first 2 shown]
	v_fma_f16 v46, v53, 2.0, -v14
	v_fma_f16 v47, v54, 2.0, -v15
	;; [unrolled: 1-line block ×7, first 2 shown]
	v_add_f16_e32 v41, v14, v41
	v_sub_f16_e32 v38, v42, v38
	v_fma_f16 v54, v76, 2.0, -v42
	v_fma_f16 v55, v88, 2.0, -v44
	;; [unrolled: 1-line block ×6, first 2 shown]
	v_add_f16_e32 v5, v16, v5
	v_sub_f16_e32 v36, v3, v36
	v_fma_f16 v37, v37, 2.0, -v40
	v_fma_f16 v9, v9, 2.0, -v11
	v_add_f16_e32 v11, v17, v11
	v_sub_f16_e32 v40, v10, v40
	v_fma_f16 v51, v58, 2.0, -v6
	v_add_f16_e32 v2, v15, v2
	v_sub_f16_e32 v44, v1, v44
	v_fma_f16 v58, v78, 2.0, -v3
	v_fma_f16 v59, v79, 2.0, -v10
	;; [unrolled: 1-line block ×8, first 2 shown]
	v_add_f16_e32 v43, v35, v43
	v_sub_f16_e32 v45, v39, v45
	v_add_f16_e32 v13, v6, v13
	v_sub_f16_e32 v8, v12, v8
	v_fma_f16 v14, v14, 2.0, -v41
	v_fma_f16 v42, v42, 2.0, -v38
	v_pack_b32_f16 v38, v41, v38
	v_fma_f16 v16, v16, 2.0, -v5
	v_fma_f16 v3, v3, 2.0, -v36
	v_pack_b32_f16 v5, v5, v36
	;; [unrolled: 3-line block ×3, first 2 shown]
	v_sub_f16_e32 v36, v46, v52
	v_sub_f16_e32 v40, v54, v53
	;; [unrolled: 1-line block ×4, first 2 shown]
	v_fma_f16 v15, v15, 2.0, -v2
	v_fma_f16 v1, v1, 2.0, -v44
	v_pack_b32_f16 v2, v2, v44
	v_sub_f16_e32 v4, v48, v4
	v_sub_f16_e32 v44, v58, v57
	v_sub_f16_e32 v37, v49, v37
	v_sub_f16_e32 v9, v59, v9
	v_sub_f16_e32 v52, v50, v61
	v_sub_f16_e32 v22, v60, v22
	v_sub_f16_e32 v53, v51, v63
	v_sub_f16_e32 v7, v62, v7
	v_fma_f16 v35, v35, 2.0, -v43
	v_fma_f16 v39, v39, 2.0, -v45
	;; [unrolled: 1-line block ×4, first 2 shown]
	v_pack_b32_f16 v43, v43, v45
	v_pack_b32_f16 v8, v13, v8
	v_fma_f16 v13, v46, 2.0, -v36
	v_fma_f16 v45, v54, 2.0, -v40
	;; [unrolled: 1-line block ×8, first 2 shown]
	v_pack_b32_f16 v14, v14, v42
	v_pack_b32_f16 v1, v15, v1
	v_fma_f16 v50, v50, 2.0, -v52
	v_fma_f16 v56, v60, 2.0, -v22
	;; [unrolled: 1-line block ×4, first 2 shown]
	v_pack_b32_f16 v36, v36, v40
	v_pack_b32_f16 v0, v41, v0
	ds_write2_b32 v33, v38, v2 offset0:32 offset1:176
	v_pack_b32_f16 v2, v16, v3
	v_pack_b32_f16 v3, v4, v44
	v_pack_b32_f16 v4, v17, v10
	v_pack_b32_f16 v9, v37, v9
	ds_write2_b32 v28, v5, v11 offset0:64 offset1:208
	v_pack_b32_f16 v5, v35, v39
	v_pack_b32_f16 v6, v6, v12
	;; [unrolled: 5-line block ×3, first 2 shown]
	ds_write2_b32 v31, v14, v1 offset0:96 offset1:240
	ds_write2_b32 v27, v36, v0 offset0:64 offset1:208
	v_pack_b32_f16 v0, v48, v54
	v_pack_b32_f16 v1, v49, v55
	ds_write2_b32 v26, v2, v4 offset1:144
	ds_write2_b32 v32, v3, v9 offset0:96 offset1:240
	v_pack_b32_f16 v2, v50, v56
	v_pack_b32_f16 v3, v51, v57
	ds_write2_b32 v30, v5, v6 offset0:32 offset1:176
	ds_write2_b32 v25, v10, v7 offset1:144
	ds_write2_b32 v24, v8, v11 offset1:144
	ds_write2_b32 v29, v0, v1 offset0:32 offset1:176
	ds_write2_b32 v19, v2, v3 offset0:64 offset1:208
	s_waitcnt lgkmcnt(0)
	s_barrier
	buffer_gl0_inv
	s_and_saveexec_b32 s0, vcc_lo
	s_cbranch_execz .LBB0_19
; %bb.18:
	v_lshl_add_u32 v16, v18, 2, 0
	v_mov_b32_e32 v19, v23
	v_add_nc_u32_e32 v22, 0x90, v18
	v_add_co_u32 v17, vcc_lo, s2, v20
	ds_read2_b32 v[0:1], v16 offset1:144
	v_add_nc_u32_e32 v6, 0x400, v16
	v_lshlrev_b64 v[2:3], 2, v[18:19]
	v_add_co_ci_u32_e32 v19, vcc_lo, s3, v21, vcc_lo
	v_lshlrev_b64 v[4:5], 2, v[22:23]
	ds_read2_b32 v[6:7], v6 offset0:32 offset1:176
	v_add_nc_u32_e32 v22, 0x120, v18
	v_add_co_u32 v2, vcc_lo, v17, v2
	v_add_co_ci_u32_e32 v3, vcc_lo, v19, v3, vcc_lo
	v_lshlrev_b64 v[8:9], 2, v[22:23]
	v_add_nc_u32_e32 v22, 0x1b0, v18
	v_add_co_u32 v4, vcc_lo, v17, v4
	v_add_co_ci_u32_e32 v5, vcc_lo, v19, v5, vcc_lo
	v_lshlrev_b64 v[10:11], 2, v[22:23]
	v_add_nc_u32_e32 v22, 0x240, v18
	s_waitcnt lgkmcnt(1)
	global_store_dword v[2:3], v0, off
	global_store_dword v[4:5], v1, off
	v_add_co_u32 v0, vcc_lo, v17, v8
	v_add_co_ci_u32_e32 v1, vcc_lo, v19, v9, vcc_lo
	v_add_co_u32 v2, vcc_lo, v17, v10
	v_add_nc_u32_e32 v8, 0x800, v16
	v_add_co_ci_u32_e32 v3, vcc_lo, v19, v11, vcc_lo
	s_waitcnt lgkmcnt(0)
	global_store_dword v[0:1], v6, off
	v_add_nc_u32_e32 v6, 0xc00, v16
	v_lshlrev_b64 v[4:5], 2, v[22:23]
	v_add_nc_u32_e32 v22, 0x2d0, v18
	ds_read2_b32 v[0:1], v8 offset0:64 offset1:208
	global_store_dword v[2:3], v7, off
	ds_read2_b32 v[6:7], v6 offset0:96 offset1:240
	v_add_nc_u32_e32 v12, 0x1200, v16
	v_lshlrev_b64 v[2:3], 2, v[22:23]
	v_add_nc_u32_e32 v22, 0x360, v18
	v_add_co_u32 v4, vcc_lo, v17, v4
	v_add_co_ci_u32_e32 v5, vcc_lo, v19, v5, vcc_lo
	v_lshlrev_b64 v[8:9], 2, v[22:23]
	v_add_co_u32 v2, vcc_lo, v17, v2
	v_add_co_ci_u32_e32 v3, vcc_lo, v19, v3, vcc_lo
	v_add_nc_u32_e32 v22, 0x3f0, v18
	v_add_co_u32 v8, vcc_lo, v17, v8
	v_add_co_ci_u32_e32 v9, vcc_lo, v19, v9, vcc_lo
	v_lshlrev_b64 v[10:11], 2, v[22:23]
	v_add_nc_u32_e32 v22, 0x480, v18
	s_waitcnt lgkmcnt(1)
	global_store_dword v[4:5], v0, off
	global_store_dword v[2:3], v1, off
	s_waitcnt lgkmcnt(0)
	global_store_dword v[8:9], v6, off
	ds_read2_b32 v[0:1], v12 offset1:144
	v_add_nc_u32_e32 v6, 0x1600, v16
	v_add_nc_u32_e32 v12, 0x1e00, v16
	v_lshlrev_b64 v[2:3], 2, v[22:23]
	v_add_nc_u32_e32 v22, 0x510, v18
	v_add_co_u32 v4, vcc_lo, v17, v10
	v_add_co_ci_u32_e32 v5, vcc_lo, v19, v11, vcc_lo
	v_lshlrev_b64 v[8:9], 2, v[22:23]
	v_add_co_u32 v2, vcc_lo, v17, v2
	v_add_co_ci_u32_e32 v3, vcc_lo, v19, v3, vcc_lo
	v_add_nc_u32_e32 v22, 0x5a0, v18
	v_add_co_u32 v8, vcc_lo, v17, v8
	v_add_co_ci_u32_e32 v9, vcc_lo, v19, v9, vcc_lo
	v_lshlrev_b64 v[10:11], 2, v[22:23]
	v_add_nc_u32_e32 v22, 0x630, v18
	global_store_dword v[4:5], v7, off
	s_waitcnt lgkmcnt(0)
	global_store_dword v[2:3], v0, off
	global_store_dword v[8:9], v1, off
	ds_read2_b32 v[0:1], v6 offset0:32 offset1:176
	v_add_nc_u32_e32 v6, 0x1a00, v16
	ds_read2_b32 v[12:13], v12 offset0:96 offset1:240
	v_lshlrev_b64 v[2:3], 2, v[22:23]
	v_add_nc_u32_e32 v22, 0x6c0, v18
	v_add_co_u32 v4, vcc_lo, v17, v10
	ds_read2_b32 v[6:7], v6 offset0:64 offset1:208
	v_add_co_ci_u32_e32 v5, vcc_lo, v19, v11, vcc_lo
	v_lshlrev_b64 v[8:9], 2, v[22:23]
	v_add_nc_u32_e32 v22, 0x750, v18
	v_add_co_u32 v2, vcc_lo, v17, v2
	v_add_co_ci_u32_e32 v3, vcc_lo, v19, v3, vcc_lo
	v_lshlrev_b64 v[10:11], 2, v[22:23]
	v_add_nc_u32_e32 v22, 0x7e0, v18
	v_add_co_u32 v8, vcc_lo, v17, v8
	;; [unrolled: 4-line block ×3, first 2 shown]
	v_add_co_ci_u32_e32 v11, vcc_lo, v19, v11, vcc_lo
	s_waitcnt lgkmcnt(2)
	global_store_dword v[4:5], v0, off
	global_store_dword v[2:3], v1, off
	s_waitcnt lgkmcnt(0)
	global_store_dword v[8:9], v6, off
	global_store_dword v[10:11], v7, off
	v_lshlrev_b64 v[0:1], 2, v[22:23]
	v_add_co_u32 v2, vcc_lo, v17, v14
	v_add_co_ci_u32_e32 v3, vcc_lo, v19, v15, vcc_lo
	v_add_nc_u32_e32 v22, 0x900, v18
	v_add_co_u32 v0, vcc_lo, v17, v0
	v_add_co_ci_u32_e32 v1, vcc_lo, v19, v1, vcc_lo
	v_add_nc_u32_e32 v6, 0x2400, v16
	v_add_nc_u32_e32 v7, 0x2800, v16
	v_lshlrev_b64 v[4:5], 2, v[22:23]
	v_add_nc_u32_e32 v22, 0x990, v18
	global_store_dword v[2:3], v12, off
	global_store_dword v[0:1], v13, off
	ds_read2_b32 v[0:1], v6 offset1:144
	ds_read2_b32 v[6:7], v7 offset0:32 offset1:176
	v_lshlrev_b64 v[2:3], 2, v[22:23]
	v_add_nc_u32_e32 v22, 0xa20, v18
	v_add_co_u32 v4, vcc_lo, v17, v4
	v_add_co_ci_u32_e32 v5, vcc_lo, v19, v5, vcc_lo
	v_lshlrev_b64 v[8:9], 2, v[22:23]
	v_add_nc_u32_e32 v22, 0xab0, v18
	v_add_co_u32 v2, vcc_lo, v17, v2
	v_add_co_ci_u32_e32 v3, vcc_lo, v19, v3, vcc_lo
	v_add_co_u32 v8, vcc_lo, v17, v8
	v_lshlrev_b64 v[10:11], 2, v[22:23]
	v_add_nc_u32_e32 v22, 0xb40, v18
	v_add_co_ci_u32_e32 v9, vcc_lo, v19, v9, vcc_lo
	s_waitcnt lgkmcnt(1)
	global_store_dword v[4:5], v0, off
	global_store_dword v[2:3], v1, off
	s_waitcnt lgkmcnt(0)
	global_store_dword v[8:9], v6, off
	v_add_nc_u32_e32 v4, 0x2c00, v16
	v_lshlrev_b64 v[0:1], 2, v[22:23]
	v_add_nc_u32_e32 v22, 0xbd0, v18
	v_add_nc_u32_e32 v6, 0x3000, v16
	v_add_co_u32 v2, vcc_lo, v17, v10
	ds_read2_b32 v[4:5], v4 offset0:64 offset1:208
	v_lshlrev_b64 v[8:9], 2, v[22:23]
	v_add_nc_u32_e32 v22, 0xc60, v18
	v_add_co_ci_u32_e32 v3, vcc_lo, v19, v11, vcc_lo
	ds_read2_b32 v[10:11], v6 offset0:96 offset1:240
	v_add_co_u32 v0, vcc_lo, v17, v0
	v_lshlrev_b64 v[12:13], 2, v[22:23]
	v_add_nc_u32_e32 v22, 0xcf0, v18
	v_add_co_ci_u32_e32 v1, vcc_lo, v19, v1, vcc_lo
	v_add_co_u32 v8, vcc_lo, v17, v8
	v_lshlrev_b64 v[14:15], 2, v[22:23]
	v_add_co_ci_u32_e32 v9, vcc_lo, v19, v9, vcc_lo
	v_add_co_u32 v12, vcc_lo, v17, v12
	v_add_co_ci_u32_e32 v13, vcc_lo, v19, v13, vcc_lo
	v_add_co_u32 v14, vcc_lo, v17, v14
	v_add_co_ci_u32_e32 v15, vcc_lo, v19, v15, vcc_lo
	global_store_dword v[2:3], v7, off
	s_waitcnt lgkmcnt(1)
	global_store_dword v[0:1], v4, off
	global_store_dword v[8:9], v5, off
	s_waitcnt lgkmcnt(0)
	global_store_dword v[12:13], v10, off
	global_store_dword v[14:15], v11, off
.LBB0_19:
	s_endpgm
	.section	.rodata,"a",@progbits
	.p2align	6, 0x0
	.amdhsa_kernel fft_rtc_back_len3456_factors_6_6_6_4_4_wgs_144_tpt_144_halfLds_half_ip_CI_unitstride_sbrr_C2R_dirReg
		.amdhsa_group_segment_fixed_size 0
		.amdhsa_private_segment_fixed_size 0
		.amdhsa_kernarg_size 88
		.amdhsa_user_sgpr_count 6
		.amdhsa_user_sgpr_private_segment_buffer 1
		.amdhsa_user_sgpr_dispatch_ptr 0
		.amdhsa_user_sgpr_queue_ptr 0
		.amdhsa_user_sgpr_kernarg_segment_ptr 1
		.amdhsa_user_sgpr_dispatch_id 0
		.amdhsa_user_sgpr_flat_scratch_init 0
		.amdhsa_user_sgpr_private_segment_size 0
		.amdhsa_wavefront_size32 1
		.amdhsa_uses_dynamic_stack 0
		.amdhsa_system_sgpr_private_segment_wavefront_offset 0
		.amdhsa_system_sgpr_workgroup_id_x 1
		.amdhsa_system_sgpr_workgroup_id_y 0
		.amdhsa_system_sgpr_workgroup_id_z 0
		.amdhsa_system_sgpr_workgroup_info 0
		.amdhsa_system_vgpr_workitem_id 0
		.amdhsa_next_free_vgpr 93
		.amdhsa_next_free_sgpr 21
		.amdhsa_reserve_vcc 1
		.amdhsa_reserve_flat_scratch 0
		.amdhsa_float_round_mode_32 0
		.amdhsa_float_round_mode_16_64 0
		.amdhsa_float_denorm_mode_32 3
		.amdhsa_float_denorm_mode_16_64 3
		.amdhsa_dx10_clamp 1
		.amdhsa_ieee_mode 1
		.amdhsa_fp16_overflow 0
		.amdhsa_workgroup_processor_mode 1
		.amdhsa_memory_ordered 1
		.amdhsa_forward_progress 0
		.amdhsa_shared_vgpr_count 0
		.amdhsa_exception_fp_ieee_invalid_op 0
		.amdhsa_exception_fp_denorm_src 0
		.amdhsa_exception_fp_ieee_div_zero 0
		.amdhsa_exception_fp_ieee_overflow 0
		.amdhsa_exception_fp_ieee_underflow 0
		.amdhsa_exception_fp_ieee_inexact 0
		.amdhsa_exception_int_div_zero 0
	.end_amdhsa_kernel
	.text
.Lfunc_end0:
	.size	fft_rtc_back_len3456_factors_6_6_6_4_4_wgs_144_tpt_144_halfLds_half_ip_CI_unitstride_sbrr_C2R_dirReg, .Lfunc_end0-fft_rtc_back_len3456_factors_6_6_6_4_4_wgs_144_tpt_144_halfLds_half_ip_CI_unitstride_sbrr_C2R_dirReg
                                        ; -- End function
	.section	.AMDGPU.csdata,"",@progbits
; Kernel info:
; codeLenInByte = 15392
; NumSgprs: 23
; NumVgprs: 93
; ScratchSize: 0
; MemoryBound: 0
; FloatMode: 240
; IeeeMode: 1
; LDSByteSize: 0 bytes/workgroup (compile time only)
; SGPRBlocks: 2
; VGPRBlocks: 11
; NumSGPRsForWavesPerEU: 23
; NumVGPRsForWavesPerEU: 93
; Occupancy: 10
; WaveLimiterHint : 1
; COMPUTE_PGM_RSRC2:SCRATCH_EN: 0
; COMPUTE_PGM_RSRC2:USER_SGPR: 6
; COMPUTE_PGM_RSRC2:TRAP_HANDLER: 0
; COMPUTE_PGM_RSRC2:TGID_X_EN: 1
; COMPUTE_PGM_RSRC2:TGID_Y_EN: 0
; COMPUTE_PGM_RSRC2:TGID_Z_EN: 0
; COMPUTE_PGM_RSRC2:TIDIG_COMP_CNT: 0
	.text
	.p2alignl 6, 3214868480
	.fill 48, 4, 3214868480
	.type	__hip_cuid_956e822df6684865,@object ; @__hip_cuid_956e822df6684865
	.section	.bss,"aw",@nobits
	.globl	__hip_cuid_956e822df6684865
__hip_cuid_956e822df6684865:
	.byte	0                               ; 0x0
	.size	__hip_cuid_956e822df6684865, 1

	.ident	"AMD clang version 19.0.0git (https://github.com/RadeonOpenCompute/llvm-project roc-6.4.0 25133 c7fe45cf4b819c5991fe208aaa96edf142730f1d)"
	.section	".note.GNU-stack","",@progbits
	.addrsig
	.addrsig_sym __hip_cuid_956e822df6684865
	.amdgpu_metadata
---
amdhsa.kernels:
  - .args:
      - .actual_access:  read_only
        .address_space:  global
        .offset:         0
        .size:           8
        .value_kind:     global_buffer
      - .offset:         8
        .size:           8
        .value_kind:     by_value
      - .actual_access:  read_only
        .address_space:  global
        .offset:         16
        .size:           8
        .value_kind:     global_buffer
      - .actual_access:  read_only
        .address_space:  global
        .offset:         24
        .size:           8
        .value_kind:     global_buffer
      - .offset:         32
        .size:           8
        .value_kind:     by_value
      - .actual_access:  read_only
        .address_space:  global
        .offset:         40
        .size:           8
        .value_kind:     global_buffer
      - .actual_access:  read_only
        .address_space:  global
        .offset:         48
        .size:           8
        .value_kind:     global_buffer
      - .offset:         56
        .size:           4
        .value_kind:     by_value
      - .actual_access:  read_only
        .address_space:  global
        .offset:         64
        .size:           8
        .value_kind:     global_buffer
      - .actual_access:  read_only
        .address_space:  global
        .offset:         72
        .size:           8
        .value_kind:     global_buffer
      - .address_space:  global
        .offset:         80
        .size:           8
        .value_kind:     global_buffer
    .group_segment_fixed_size: 0
    .kernarg_segment_align: 8
    .kernarg_segment_size: 88
    .language:       OpenCL C
    .language_version:
      - 2
      - 0
    .max_flat_workgroup_size: 144
    .name:           fft_rtc_back_len3456_factors_6_6_6_4_4_wgs_144_tpt_144_halfLds_half_ip_CI_unitstride_sbrr_C2R_dirReg
    .private_segment_fixed_size: 0
    .sgpr_count:     23
    .sgpr_spill_count: 0
    .symbol:         fft_rtc_back_len3456_factors_6_6_6_4_4_wgs_144_tpt_144_halfLds_half_ip_CI_unitstride_sbrr_C2R_dirReg.kd
    .uniform_work_group_size: 1
    .uses_dynamic_stack: false
    .vgpr_count:     93
    .vgpr_spill_count: 0
    .wavefront_size: 32
    .workgroup_processor_mode: 1
amdhsa.target:   amdgcn-amd-amdhsa--gfx1030
amdhsa.version:
  - 1
  - 2
...

	.end_amdgpu_metadata
